;; amdgpu-corpus repo=ROCm/rocFFT kind=compiled arch=gfx1201 opt=O3
	.text
	.amdgcn_target "amdgcn-amd-amdhsa--gfx1201"
	.amdhsa_code_object_version 6
	.protected	bluestein_single_fwd_len1078_dim1_half_op_CI_CI ; -- Begin function bluestein_single_fwd_len1078_dim1_half_op_CI_CI
	.globl	bluestein_single_fwd_len1078_dim1_half_op_CI_CI
	.p2align	8
	.type	bluestein_single_fwd_len1078_dim1_half_op_CI_CI,@function
bluestein_single_fwd_len1078_dim1_half_op_CI_CI: ; @bluestein_single_fwd_len1078_dim1_half_op_CI_CI
; %bb.0:
	s_load_b128 s[12:15], s[0:1], 0x28
	v_mul_u32_u24_e32 v1, 0x354, v0
	s_mov_b32 s2, exec_lo
	s_delay_alu instid0(VALU_DEP_1) | instskip(NEXT) | instid1(VALU_DEP_1)
	v_lshrrev_b32_e32 v1, 16, v1
	v_mad_co_u64_u32 v[32:33], null, ttmp9, 3, v[1:2]
	v_mov_b32_e32 v33, 0
                                        ; kill: def $vgpr2 killed $sgpr0 killed $exec
	s_wait_kmcnt 0x0
	s_delay_alu instid0(VALU_DEP_1)
	v_cmpx_gt_u64_e64 s[12:13], v[32:33]
	s_cbranch_execz .LBB0_10
; %bb.1:
	s_clause 0x1
	s_load_b128 s[4:7], s[0:1], 0x18
	s_load_b128 s[8:11], s[0:1], 0x0
	v_mul_lo_u16 v1, 0x4d, v1
	s_movk_i32 s2, 0xf8c8
	s_mov_b32 s3, -1
                                        ; implicit-def: $vgpr49
                                        ; implicit-def: $vgpr50
                                        ; implicit-def: $vgpr47
                                        ; implicit-def: $vgpr51
                                        ; implicit-def: $vgpr48
                                        ; implicit-def: $vgpr54
                                        ; implicit-def: $vgpr38
                                        ; implicit-def: $vgpr55
                                        ; implicit-def: $vgpr56
                                        ; implicit-def: $vgpr40
                                        ; implicit-def: $vgpr58
	s_delay_alu instid0(VALU_DEP_1) | instskip(NEXT) | instid1(VALU_DEP_1)
	v_sub_nc_u16 v0, v0, v1
	v_and_b32_e32 v87, 0xffff, v0
	v_lshlrev_b16 v22, 1, v0
	s_wait_kmcnt 0x0
	s_load_b128 s[16:19], s[4:5], 0x0
	s_wait_kmcnt 0x0
	v_mad_co_u64_u32 v[1:2], null, s18, v32, 0
	v_mad_co_u64_u32 v[3:4], null, s16, v87, 0
	s_mul_u64 s[4:5], s[16:17], 0x86c
	s_mul_u64 s[2:3], s[16:17], s[2:3]
	s_delay_alu instid0(VALU_DEP_1) | instskip(NEXT) | instid1(VALU_DEP_2)
	v_mad_co_u64_u32 v[5:6], null, s19, v32, v[2:3]
	v_mov_b32_e32 v2, v4
	v_lshlrev_b32_e32 v28, 2, v87
	s_clause 0x5
	global_load_b32 v93, v28, s[8:9]
	global_load_b32 v90, v28, s[8:9] offset:308
	global_load_b32 v84, v28, s[8:9] offset:616
	;; [unrolled: 1-line block ×5, first 2 shown]
	v_mad_co_u64_u32 v[6:7], null, s17, v87, v[2:3]
	v_mov_b32_e32 v2, v5
	s_clause 0x6
	global_load_b32 v88, v28, s[8:9] offset:2464
	global_load_b32 v83, v28, s[8:9] offset:2772
	global_load_b32 v79, v28, s[8:9] offset:3080
	global_load_b32 v75, v28, s[8:9] offset:3388
	global_load_b32 v71, v28, s[8:9] offset:3696
	global_load_b32 v94, v28, s[8:9] offset:2156
	global_load_b32 v69, v28, s[8:9] offset:1848
	v_lshlrev_b64_e32 v[1:2], 2, v[1:2]
	v_mov_b32_e32 v4, v6
	s_delay_alu instid0(VALU_DEP_1) | instskip(NEXT) | instid1(VALU_DEP_3)
	v_lshlrev_b64_e32 v[3:4], 2, v[3:4]
	v_add_co_u32 v1, vcc_lo, s14, v1
	s_delay_alu instid0(VALU_DEP_4) | instskip(NEXT) | instid1(VALU_DEP_2)
	v_add_co_ci_u32_e32 v2, vcc_lo, s15, v2, vcc_lo
	v_add_co_u32 v1, vcc_lo, v1, v3
	s_wait_alu 0xfffd
	s_delay_alu instid0(VALU_DEP_2) | instskip(NEXT) | instid1(VALU_DEP_2)
	v_add_co_ci_u32_e32 v2, vcc_lo, v2, v4, vcc_lo
	v_add_co_u32 v3, vcc_lo, v1, s4
	s_wait_alu 0xfffd
	s_delay_alu instid0(VALU_DEP_2)
	v_add_co_ci_u32_e32 v4, vcc_lo, s5, v2, vcc_lo
	global_load_b32 v5, v[1:2], off
	v_add_co_u32 v1, vcc_lo, v3, s2
	s_wait_alu 0xfffd
	v_add_co_ci_u32_e32 v2, vcc_lo, s3, v4, vcc_lo
	global_load_b32 v6, v[3:4], off
	global_load_b32 v67, v28, s[8:9] offset:4004
	global_load_b32 v7, v[1:2], off
	v_add_co_u32 v1, vcc_lo, v1, s4
	s_wait_alu 0xfffd
	v_add_co_ci_u32_e32 v2, vcc_lo, s5, v2, vcc_lo
	s_delay_alu instid0(VALU_DEP_2) | instskip(SKIP_1) | instid1(VALU_DEP_2)
	v_add_co_u32 v3, vcc_lo, v1, s2
	s_wait_alu 0xfffd
	v_add_co_ci_u32_e32 v4, vcc_lo, s3, v2, vcc_lo
	s_clause 0x1
	global_load_b32 v8, v[1:2], off
	global_load_b32 v9, v[3:4], off
	v_add_co_u32 v1, vcc_lo, v3, s4
	s_wait_alu 0xfffd
	v_add_co_ci_u32_e32 v2, vcc_lo, s5, v4, vcc_lo
	s_delay_alu instid0(VALU_DEP_2) | instskip(SKIP_1) | instid1(VALU_DEP_2)
	v_add_co_u32 v3, vcc_lo, v1, s2
	s_wait_alu 0xfffd
	v_add_co_ci_u32_e32 v4, vcc_lo, s3, v2, vcc_lo
	global_load_b32 v10, v[1:2], off
	v_add_co_u32 v1, vcc_lo, v3, s4
	s_wait_alu 0xfffd
	v_add_co_ci_u32_e32 v2, vcc_lo, s5, v4, vcc_lo
	global_load_b32 v11, v[3:4], off
	global_load_b32 v12, v[1:2], off
	v_add_co_u32 v1, vcc_lo, v1, s2
	s_wait_alu 0xfffd
	v_add_co_ci_u32_e32 v2, vcc_lo, s3, v2, vcc_lo
	s_delay_alu instid0(VALU_DEP_2) | instskip(SKIP_1) | instid1(VALU_DEP_2)
	v_add_co_u32 v3, vcc_lo, v1, s4
	s_wait_alu 0xfffd
	v_add_co_ci_u32_e32 v4, vcc_lo, s5, v2, vcc_lo
	global_load_b32 v13, v[1:2], off
	v_add_co_u32 v1, vcc_lo, v3, s2
	s_wait_alu 0xfffd
	v_add_co_ci_u32_e32 v2, vcc_lo, s3, v4, vcc_lo
	global_load_b32 v14, v[3:4], off
	v_add_co_u32 v3, vcc_lo, v1, s4
	s_wait_alu 0xfffd
	v_add_co_ci_u32_e32 v4, vcc_lo, s5, v2, vcc_lo
	global_load_b32 v15, v[1:2], off
	v_add_co_u32 v1, vcc_lo, v3, s2
	s_wait_alu 0xfffd
	v_add_co_ci_u32_e32 v2, vcc_lo, s3, v4, vcc_lo
	global_load_b32 v16, v[3:4], off
	v_add_co_u32 v3, vcc_lo, v1, s4
	s_wait_alu 0xfffd
	v_add_co_ci_u32_e32 v4, vcc_lo, s5, v2, vcc_lo
	global_load_b32 v17, v[1:2], off
	global_load_b32 v18, v[3:4], off
	v_mul_hi_u32 v1, 0xaaaaaaab, v32
	s_load_b128 s[4:7], s[6:7], 0x0
	s_load_b64 s[2:3], s[0:1], 0x38
	v_cmp_gt_u16_e32 vcc_lo, 21, v0
	s_delay_alu instid0(VALU_DEP_2) | instskip(NEXT) | instid1(VALU_DEP_1)
	v_lshrrev_b32_e32 v1, 1, v1
	v_lshl_add_u32 v1, v1, 1, v1
	s_delay_alu instid0(VALU_DEP_1) | instskip(NEXT) | instid1(VALU_DEP_1)
	v_sub_nc_u32_e32 v1, v32, v1
	v_mul_u32_u24_e32 v1, 0x436, v1
	s_delay_alu instid0(VALU_DEP_1) | instskip(NEXT) | instid1(VALU_DEP_1)
	v_lshlrev_b32_e32 v97, 2, v1
	v_add_nc_u32_e32 v89, v28, v97
	v_lshl_add_u32 v45, v87, 3, v97
	s_delay_alu instid0(VALU_DEP_2)
	v_add_nc_u32_e32 v2, 0x800, v89
	v_add_nc_u32_e32 v1, 0xc00, v89
	;; [unrolled: 1-line block ×4, first 2 shown]
	s_wait_loadcnt 0x1b
	v_lshrrev_b32_e32 v96, 16, v93
	s_wait_loadcnt 0x1a
	v_lshrrev_b32_e32 v92, 16, v90
	;; [unrolled: 2-line block ×5, first 2 shown]
	v_lshrrev_b32_e32 v35, 16, v80
	s_wait_loadcnt 0x13
	v_lshrrev_b32_e32 v34, 16, v79
	v_lshrrev_b32_e32 v33, 16, v76
	s_wait_loadcnt 0x10
	v_lshrrev_b32_e32 v95, 16, v94
	v_lshrrev_b32_e32 v31, 16, v75
	;; [unrolled: 1-line block ×4, first 2 shown]
	s_wait_loadcnt 0xf
	v_lshrrev_b32_e32 v27, 16, v69
	s_wait_loadcnt 0xe
	v_lshrrev_b32_e32 v19, 16, v5
	v_mul_f16_e32 v20, v96, v5
	s_wait_loadcnt 0xd
	v_lshrrev_b32_e32 v23, 16, v6
	s_delay_alu instid0(VALU_DEP_3)
	v_mul_f16_e32 v21, v96, v19
	v_mul_f16_e32 v24, v95, v6
	v_fma_f16 v19, v93, v19, -v20
	s_wait_loadcnt 0xb
	v_lshrrev_b32_e32 v20, 16, v7
	v_lshrrev_b32_e32 v26, 16, v67
	v_fmac_f16_e32 v21, v93, v5
	v_mul_f16_e32 v5, v95, v23
	v_fma_f16 v23, v94, v23, -v24
	v_mul_f16_e32 v24, v92, v7
	s_delay_alu instid0(VALU_DEP_4) | instskip(NEXT) | instid1(VALU_DEP_4)
	v_pack_b32_f16 v19, v21, v19
	v_fmac_f16_e32 v5, v94, v6
	v_mul_f16_e32 v6, v92, v20
	s_wait_loadcnt 0xa
	v_lshrrev_b32_e32 v21, 16, v8
	v_mul_f16_e32 v25, v91, v8
	v_fma_f16 v20, v90, v20, -v24
	v_pack_b32_f16 v5, v5, v23
	v_fmac_f16_e32 v6, v90, v7
	v_mul_f16_e32 v7, v91, v21
	s_wait_loadcnt 0x9
	v_lshrrev_b32_e32 v23, 16, v9
	v_fma_f16 v21, v88, v21, -v25
	v_mul_f16_e32 v24, v86, v9
	ds_store_b32 v89, v5 offset:2156
	v_pack_b32_f16 v5, v6, v20
	v_fmac_f16_e32 v7, v88, v8
	v_mul_f16_e32 v6, v86, v23
	s_wait_loadcnt 0x8
	v_lshrrev_b32_e32 v20, 16, v10
	v_fma_f16 v8, v84, v23, -v24
	v_mul_f16_e32 v23, v36, v10
	ds_store_2addr_b32 v89, v19, v5 offset1:77
	v_pack_b32_f16 v5, v7, v21
	v_fmac_f16_e32 v6, v84, v9
	v_mul_f16_e32 v7, v36, v20
	s_wait_loadcnt 0x7
	v_lshrrev_b32_e32 v9, 16, v11
	v_fma_f16 v19, v83, v20, -v23
	v_mul_f16_e32 v20, v35, v11
	v_pack_b32_f16 v6, v6, v8
	v_fmac_f16_e32 v7, v83, v10
	v_mul_f16_e32 v8, v35, v9
	s_wait_loadcnt 0x6
	v_lshrrev_b32_e32 v10, 16, v12
	v_mul_f16_e32 v21, v34, v12
	v_fma_f16 v9, v80, v9, -v20
	v_pack_b32_f16 v7, v7, v19
	v_fmac_f16_e32 v8, v80, v11
	v_mul_f16_e32 v11, v34, v10
	s_wait_loadcnt 0x5
	v_lshrrev_b32_e32 v19, 16, v13
	v_fma_f16 v10, v79, v10, -v21
	v_mul_f16_e32 v20, v33, v13
	ds_store_2addr_b32 v2, v5, v7 offset0:104 offset1:181
	v_fmac_f16_e32 v11, v79, v12
	v_mul_f16_e32 v7, v33, v19
	v_pack_b32_f16 v5, v8, v9
	v_fma_f16 v8, v76, v19, -v20
	s_wait_loadcnt 0x4
	v_lshrrev_b32_e32 v9, 16, v14
	v_mul_f16_e32 v12, v31, v14
	v_pack_b32_f16 v10, v11, v10
	v_fmac_f16_e32 v7, v76, v13
	s_wait_loadcnt 0x3
	v_lshrrev_b32_e32 v11, 16, v15
	v_mul_f16_e32 v13, v31, v9
	v_fma_f16 v9, v75, v9, -v12
	v_mul_f16_e32 v12, v30, v15
	v_pack_b32_f16 v7, v7, v8
	v_mul_f16_e32 v8, v30, v11
	v_fmac_f16_e32 v13, v75, v14
	s_wait_loadcnt 0x2
	v_lshrrev_b32_e32 v14, 16, v16
	v_fma_f16 v11, v73, v11, -v12
	v_mul_f16_e32 v12, v29, v16
	v_fmac_f16_e32 v8, v73, v15
	s_wait_loadcnt 0x1
	v_lshrrev_b32_e32 v15, 16, v17
	s_wait_loadcnt 0x0
	v_lshrrev_b32_e32 v20, 16, v18
	v_mul_f16_e32 v19, v29, v14
	v_fma_f16 v12, v71, v14, -v12
	v_mul_f16_e32 v14, v27, v17
	v_mul_f16_e32 v21, v27, v15
	;; [unrolled: 1-line block ×4, first 2 shown]
	v_fmac_f16_e32 v19, v71, v16
	v_fma_f16 v14, v69, v15, -v14
	v_fmac_f16_e32 v21, v69, v17
	v_fma_f16 v15, v67, v20, -v23
	v_fmac_f16_e32 v24, v67, v18
	v_pack_b32_f16 v9, v13, v9
	v_pack_b32_f16 v8, v8, v11
	;; [unrolled: 1-line block ×5, first 2 shown]
	ds_store_2addr_b32 v89, v6, v5 offset0:154 offset1:231
	ds_store_2addr_b32 v1, v10, v9 offset0:2 offset1:79
	;; [unrolled: 1-line block ×3, first 2 shown]
	ds_store_b32 v89, v12 offset:1848
	ds_store_2addr_b32 v1, v11, v13 offset0:156 offset1:233
	global_wb scope:SCOPE_SE
	s_wait_dscnt 0x0
	s_wait_kmcnt 0x0
	s_barrier_signal -1
	s_barrier_wait -1
	global_inv scope:SCOPE_SE
	ds_load_2addr_b32 v[5:6], v4 offset0:52 offset1:129
	ds_load_2addr_b32 v[7:8], v1 offset0:156 offset1:233
	;; [unrolled: 1-line block ×3, first 2 shown]
	ds_load_2addr_b32 v[13:14], v89 offset1:77
	ds_load_2addr_b32 v[16:17], v2 offset0:104 offset1:181
	ds_load_2addr_b32 v[18:19], v89 offset0:154 offset1:231
	;; [unrolled: 1-line block ×3, first 2 shown]
	v_and_b32_e32 v11, 0xffff, v22
	v_add_co_u32 v15, s0, 0x4d, v87
	s_wait_alu 0xf1ff
	v_add_co_ci_u32_e64 v12, null, 0, 0, s0
	s_delay_alu instid0(VALU_DEP_3) | instskip(NEXT) | instid1(VALU_DEP_3)
	v_lshl_add_u32 v53, v11, 2, v97
	v_lshl_add_u32 v57, v15, 3, v97
	v_add_nc_u32_e32 v26, 0x200, v89
	v_add_nc_u32_e32 v25, 0x800, v45
	global_wb scope:SCOPE_SE
	s_wait_dscnt 0x0
	s_barrier_signal -1
	s_barrier_wait -1
	global_inv scope:SCOPE_SE
	v_add_co_u32 v35, s0, s8, v28
	v_pk_add_f16 v42, v9, v8 neg_lo:[0,1] neg_hi:[0,1]
	v_pk_add_f16 v22, v13, v10 neg_lo:[0,1] neg_hi:[0,1]
	v_pk_add_f16 v8, v14, v16 neg_lo:[0,1] neg_hi:[0,1]
	v_pk_add_f16 v17, v18, v17 neg_lo:[0,1] neg_hi:[0,1]
	v_pk_add_f16 v20, v19, v20 neg_lo:[0,1] neg_hi:[0,1]
	v_pk_add_f16 v12, v6, v7 neg_lo:[0,1] neg_hi:[0,1]
	v_pk_add_f16 v24, v5, v21 neg_lo:[0,1] neg_hi:[0,1]
	v_pk_fma_f16 v21, v13, 2.0, v22 op_sel_hi:[1,0,1] neg_lo:[0,0,1] neg_hi:[0,0,1]
	v_pk_fma_f16 v7, v14, 2.0, v8 op_sel_hi:[1,0,1] neg_lo:[0,0,1] neg_hi:[0,0,1]
	;; [unrolled: 1-line block ×7, first 2 shown]
	ds_store_b64 v53, v[21:22]
	ds_store_b64 v57, v[7:8]
	ds_store_2addr_b64 v45, v[16:17], v[19:20] offset0:154 offset1:231
	ds_store_2addr_b64 v25, v[23:24], v[11:12] offset0:52 offset1:129
	ds_store_b64 v45, v[41:42] offset:3696
	global_wb scope:SCOPE_SE
	s_wait_dscnt 0x0
	s_barrier_signal -1
	s_barrier_wait -1
	global_inv scope:SCOPE_SE
	ds_load_2addr_b32 v[13:14], v89 offset1:98
	ds_load_2addr_b32 v[26:27], v26 offset0:68 offset1:166
	ds_load_2addr_b32 v[24:25], v4 offset0:136 offset1:234
	;; [unrolled: 1-line block ×4, first 2 shown]
	ds_load_b32 v46, v89 offset:3920
	s_wait_alu 0xf1ff
	v_add_co_ci_u32_e64 v36, null, s9, 0, s0
	v_lshrrev_b32_e32 v52, 16, v41
                                        ; implicit-def: $vgpr28
                                        ; implicit-def: $vgpr30
	s_and_saveexec_b32 s0, vcc_lo
	s_cbranch_execz .LBB0_3
; %bb.2:
	ds_load_2addr_b32 v[5:6], v89 offset0:77 offset1:175
	ds_load_2addr_b32 v[39:40], v4 offset0:17 offset1:115
	;; [unrolled: 1-line block ×5, first 2 shown]
	ds_load_b32 v48, v89 offset:4228
	s_wait_dscnt 0x5
	v_lshrrev_b32_e32 v52, 16, v6
	s_wait_dscnt 0x4
	v_lshrrev_b32_e32 v58, 16, v40
	s_wait_dscnt 0x3
	v_lshrrev_b32_e32 v56, 16, v37
	v_lshrrev_b32_e32 v55, 16, v38
	s_wait_dscnt 0x2
	v_lshrrev_b32_e32 v49, 16, v28
	v_lshrrev_b32_e32 v50, 16, v29
	s_wait_dscnt 0x1
	v_lshrrev_b32_e32 v47, 16, v30
	v_lshrrev_b32_e32 v51, 16, v31
	s_wait_dscnt 0x0
	v_lshrrev_b32_e32 v54, 16, v48
	v_dual_mov_b32 v41, v6 :: v_dual_mov_b32 v42, v39
	v_mov_b32_e32 v12, v5
.LBB0_3:
	s_wait_alu 0xfffe
	s_or_b32 exec_lo, exec_lo, s0
	v_and_b32_e32 v0, 1, v15
	v_and_b32_e32 v39, 1, v87
	v_lshrrev_b32_e32 v59, 1, v87
	s_wait_dscnt 0x5
	v_lshrrev_b32_e32 v137, 16, v14
	v_lshrrev_b32_e32 v60, 16, v42
	scratch_store_b32 off, v0, off          ; 4-byte Folded Spill
	v_mul_u32_u24_e32 v0, 10, v0
	v_mul_u32_u24_e32 v9, 10, v39
	s_wait_dscnt 0x4
	v_lshrrev_b32_e32 v61, 16, v26
	v_mul_u32_u24_e32 v59, 22, v59
	s_wait_dscnt 0x3
	v_lshrrev_b32_e32 v131, 16, v25
	v_lshlrev_b32_e32 v8, 2, v0
	v_lshlrev_b32_e32 v43, 2, v9
	s_wait_dscnt 0x1
	v_lshrrev_b32_e32 v135, 16, v21
	s_wait_dscnt 0x0
	v_lshrrev_b32_e32 v136, 16, v46
	s_clause 0x5
	global_load_b128 v[4:7], v8, s[10:11]
	global_load_b128 v[0:3], v8, s[10:11] offset:16
	global_load_b64 v[33:34], v8, s[10:11] offset:32
	global_load_b128 v[16:19], v43, s[10:11]
	global_load_b128 v[8:11], v43, s[10:11] offset:16
	global_load_b64 v[43:44], v43, s[10:11] offset:32
	v_lshrrev_b32_e32 v62, 16, v27
	v_lshrrev_b32_e32 v134, 16, v20
	v_or_b32_e32 v39, v59, v39
	v_lshrrev_b32_e32 v59, 16, v13
	v_lshrrev_b32_e32 v110, 16, v24
	;; [unrolled: 1-line block ×4, first 2 shown]
	v_lshl_add_u32 v109, v39, 2, v97
	global_wb scope:SCOPE_SE
	s_wait_loadcnt 0x0
	s_wait_storecnt 0x0
	s_barrier_signal -1
	s_barrier_wait -1
	global_inv scope:SCOPE_SE
	v_lshrrev_b32_e32 v108, 16, v34
	v_lshrrev_b32_e32 v122, 16, v16
	;; [unrolled: 1-line block ×9, first 2 shown]
	v_mul_f16_e64 v163, v14, v122
	v_mul_f16_e64 v164, v137, v122
	v_lshrrev_b32_e32 v107, 16, v4
	v_lshrrev_b32_e32 v114, 16, v44
	;; [unrolled: 1-line block ×4, first 2 shown]
	v_mul_f16_e32 v127, v60, v105
	v_mul_f16_e64 v128, v58, v103
	v_mul_f16_e32 v124, v40, v103
	v_mul_f16_e64 v138, v56, v101
	v_mul_f16_e64 v145, v61, v121
	;; [unrolled: 1-line block ×6, first 2 shown]
	v_fmac_f16_e64 v163, v137, v16
	v_fma_f16 v14, v14, v16, -v164
	v_lshrrev_b32_e32 v100, 16, v1
	v_lshrrev_b32_e32 v102, 16, v2
	;; [unrolled: 1-line block ×4, first 2 shown]
	v_mul_f16_e32 v126, v41, v107
	v_mul_f16_e32 v125, v42, v105
	;; [unrolled: 1-line block ×3, first 2 shown]
	v_mul_f16_e64 v161, v136, v114
	v_mul_f16_e64 v162, v46, v114
	v_lshrrev_b32_e32 v119, 16, v19
	v_mul_f16_e32 v123, v37, v101
	v_mul_f16_e64 v139, v55, v99
	v_mul_f16_e32 v112, v38, v99
	v_mul_f16_e64 v146, v62, v120
	v_mul_f16_e64 v152, v25, v118
	;; [unrolled: 1-line block ×4, first 2 shown]
	v_fma_f16 v129, v42, v5, -v127
	v_fma_f16 v128, v40, v6, -v128
	v_fmac_f16_e32 v124, v58, v6
	v_fma_f16 v127, v37, v7, -v138
	v_fma_f16 v37, v26, v17, -v145
	;; [unrolled: 1-line block ×4, first 2 shown]
	v_fmac_f16_e64 v147, v61, v17
	v_fmac_f16_e64 v148, v62, v18
	v_add_f16_e32 v62, v13, v14
	v_add_f16_e64 v150, v59, v163
	v_lshrrev_b32_e32 v104, 16, v3
	v_lshrrev_b32_e32 v116, 16, v10
	v_mul_f16_e32 v39, v52, v107
	v_mul_f16_e64 v140, v49, v100
	v_mul_f16_e32 v66, v29, v102
	v_mul_f16_e32 v64, v31, v106
	v_mul_f16_e64 v144, v54, v108
	v_mul_f16_e64 v155, v22, v117
	;; [unrolled: 1-line block ×3, first 2 shown]
	v_fmac_f16_e32 v126, v52, v4
	v_fmac_f16_e32 v125, v60, v5
	v_fmac_f16_e32 v63, v54, v34
	v_fma_f16 v60, v46, v44, -v161
	v_fmac_f16_e64 v162, v136, v44
	v_mul_f16_e64 v149, v110, v119
	v_mul_f16_e64 v151, v24, v119
	v_fmac_f16_e32 v123, v56, v7
	v_fma_f16 v56, v38, v0, -v139
	v_fmac_f16_e32 v112, v55, v0
	v_fma_f16 v38, v27, v18, -v146
	v_fma_f16 v55, v20, v11, -v157
	v_fmac_f16_e64 v152, v131, v8
	v_fmac_f16_e64 v159, v134, v11
	v_add_f16_e64 v131, v37, v58
	v_sub_f16_e64 v134, v37, v58
	v_add_f16_e32 v37, v62, v37
	v_add_f16_e64 v62, v150, v147
	v_mul_f16_e32 v111, v28, v100
	v_mul_f16_e64 v141, v50, v102
	v_mul_f16_e32 v65, v30, v104
	v_mul_f16_e64 v143, v51, v106
	v_mul_f16_e64 v153, v132, v117
	;; [unrolled: 1-line block ×4, first 2 shown]
	v_fma_f16 v130, v41, v4, -v39
	v_fma_f16 v52, v28, v1, -v140
	v_fmac_f16_e32 v66, v50, v2
	v_fma_f16 v28, v48, v34, -v144
	v_fmac_f16_e32 v64, v51, v33
	v_fmac_f16_e64 v155, v132, v9
	v_fmac_f16_e64 v160, v135, v43
	v_sub_f16_e32 v54, v126, v63
	v_sub_f16_e64 v50, v163, v162
	v_sub_f16_e64 v132, v14, v60
	v_fma_f16 v39, v24, v19, -v149
	v_fmac_f16_e64 v151, v110, v19
	v_add_f16_e64 v137, v38, v55
	v_sub_f16_e64 v138, v38, v55
	v_add_f16_e32 v37, v37, v38
	v_add_f16_e64 v38, v62, v148
	v_mul_f16_e64 v142, v47, v104
	v_fmac_f16_e32 v111, v49, v1
	v_fma_f16 v49, v29, v2, -v141
	v_fma_f16 v29, v31, v33, -v143
	v_fmac_f16_e32 v65, v47, v3
	v_fma_f16 v41, v22, v9, -v153
	v_fma_f16 v42, v23, v10, -v154
	v_fmac_f16_e64 v156, v133, v10
	v_add_f16_e64 v27, v130, v28
	v_sub_f16_e32 v51, v125, v64
	v_add_f16_e32 v61, v14, v60
	v_sub_f16_e64 v110, v147, v160
	v_add_f16_e64 v133, v163, v162
	v_mul_f16_e32 v31, 0xbb47, v54
	v_mul_f16_e64 v153, 0xbbeb, v54
	v_mul_f16_e64 v154, 0xba0c, v54
	;; [unrolled: 1-line block ×11, first 2 shown]
	v_add_f16_e32 v37, v37, v39
	v_add_f16_e64 v38, v38, v151
	v_fma_f16 v30, v30, v3, -v142
	v_add_f16_e64 v25, v129, v29
	v_sub_f16_e32 v48, v124, v65
	v_add_f16_e64 v135, v147, v160
	v_sub_f16_e64 v136, v148, v159
	v_mul_f16_e32 v26, 0xba0c, v51
	v_mul_f16_e64 v158, 0x3482, v51
	v_mul_f16_e64 v161, 0x3beb, v51
	;; [unrolled: 1-line block ×9, first 2 shown]
	v_fma_f16 v210, 0x36a6, v27, v31
	v_fma_f16 v211, v27, 0xb08e, -v153
	v_fmac_f16_e64 v153, 0xb08e, v27
	v_fma_f16 v212, v27, 0xb93d, -v154
	v_fmac_f16_e64 v154, 0xb93d, v27
	;; [unrolled: 2-line block ×8, first 2 shown]
	v_fma_f16 v234, 0x36a6, v133, v179
	v_fma_f16 v237, 0xb08e, v133, v182
	v_add_f16_e64 v139, v148, v159
	v_mul_f16_e64 v147, 0xbb47, v110
	v_mul_f16_e64 v196, 0xbb47, v134
	v_fma_f16 v148, 0x3abb, v133, v150
	v_add_f16_e32 v37, v37, v40
	v_add_f16_e64 v38, v38, v152
	v_add_f16_e64 v24, v128, v30
	v_sub_f16_e32 v47, v123, v66
	v_sub_f16_e64 v140, v151, v156
	v_sub_f16_e64 v142, v39, v42
	v_mul_f16_e32 v22, 0x3482, v48
	v_mul_f16_e64 v164, 0x3b47, v48
	v_mul_f16_e64 v165, 0xb853, v48
	v_mul_f16_e64 v166, 0xba0c, v48
	v_mul_f16_e64 v184, 0x3482, v136
	v_mul_f16_e64 v185, 0x3482, v138
	v_mul_f16_e64 v186, 0x3b47, v136
	v_mul_f16_e64 v187, 0x3b47, v138
	v_mul_f16_e64 v203, 0x3beb, v110
	v_mul_f16_e64 v205, 0x3beb, v134
	v_mul_f16_e32 v110, 0x3853, v110
	v_mul_f16_e64 v134, 0x3853, v134
	v_fma_f16 v213, 0xb93d, v25, v26
	v_fma_f16 v214, v25, 0xbbad, -v158
	v_fmac_f16_e64 v158, 0xbbad, v25
	v_fma_f16 v215, v25, 0xb08e, -v161
	v_fmac_f16_e64 v161, 0xb08e, v25
	;; [unrolled: 2-line block ×3, first 2 shown]
	v_fma_f16 v61, v131, 0xb93d, -v178
	v_fma_f16 v235, 0xb93d, v135, v180
	v_fma_f16 v236, v131, 0xbbad, -v181
	v_fma_f16 v238, 0xbbad, v135, v183
	v_fma_f16 v72, 0xb93d, v133, v204
	;; [unrolled: 1-line block ×3, first 2 shown]
	v_add_f16_e64 v210, v12, v210
	v_add_f16_e64 v153, v12, v153
	;; [unrolled: 1-line block ×19, first 2 shown]
	v_mul_f16_e64 v197, 0xbbeb, v136
	v_mul_f16_e64 v198, 0xbbeb, v138
	v_fma_f16 v62, v131, 0x36a6, -v147
	v_fma_f16 v251, 0x36a6, v135, v196
	v_add_f16_e64 v39, v59, v148
	v_add_f16_e32 v37, v37, v41
	v_add_f16_e64 v38, v38, v155
	v_add_f16_e32 v23, v127, v49
	v_sub_f16_e32 v46, v112, v111
	v_add_f16_e64 v143, v151, v156
	v_sub_f16_e64 v144, v152, v155
	v_sub_f16_e64 v146, v40, v41
	v_mul_f16_e32 v20, 0x3beb, v47
	v_mul_f16_e64 v167, 0xb853, v47
	v_mul_f16_e64 v168, 0xb482, v47
	;; [unrolled: 1-line block ×8, first 2 shown]
	v_fma_f16 v218, 0xbbad, v24, v22
	v_fma_f16 v219, v24, 0x36a6, -v164
	v_fmac_f16_e64 v164, 0x36a6, v24
	v_fma_f16 v220, v24, 0x3abb, -v165
	v_fmac_f16_e64 v165, 0x3abb, v24
	;; [unrolled: 2-line block ×3, first 2 shown]
	v_fma_f16 v239, v137, 0xbbad, -v184
	v_fma_f16 v240, 0xbbad, v139, v185
	v_fma_f16 v241, v137, 0x36a6, -v186
	v_fma_f16 v242, 0x36a6, v139, v187
	;; [unrolled: 2-line block ×4, first 2 shown]
	v_add_f16_e32 v72, v59, v72
	v_add_f16_e32 v78, v59, v78
	v_add_f16_e64 v148, v213, v210
	v_add_f16_e64 v151, v158, v153
	;; [unrolled: 1-line block ×11, first 2 shown]
	v_mul_f16_e64 v199, 0xba0c, v140
	v_mul_f16_e64 v200, 0xba0c, v142
	v_fma_f16 v252, v137, 0xb08e, -v197
	v_fma_f16 v253, 0xb08e, v139, v198
	v_add_f16_e64 v40, v62, v229
	v_add_f16_e64 v39, v251, v39
	v_add_f16_e32 v37, v37, v42
	v_add_f16_e64 v38, v38, v156
	v_add_f16_e32 v21, v56, v52
	v_add_f16_e64 v149, v152, v155
	v_mul_f16_e32 v14, 0x3853, v46
	v_mul_f16_e64 v170, 0xba0c, v46
	v_mul_f16_e64 v192, 0x3853, v144
	;; [unrolled: 1-line block ×5, first 2 shown]
	v_fma_f16 v222, 0xb08e, v23, v20
	v_fma_f16 v223, v23, 0x3abb, -v167
	v_fmac_f16_e64 v167, 0x3abb, v23
	v_fma_f16 v224, v23, 0xbbad, -v168
	v_fmac_f16_e64 v168, 0xbbad, v23
	;; [unrolled: 2-line block ×3, first 2 shown]
	v_fma_f16 v243, v141, 0xb08e, -v188
	v_fma_f16 v244, 0xb08e, v143, v189
	v_fma_f16 v245, v141, 0x3abb, -v190
	v_fma_f16 v246, 0x3abb, v143, v191
	v_fma_f16 v82, v137, 0x3abb, -v206
	v_add_f16_e64 v62, v70, v232
	v_add_f16_e32 v70, v74, v72
	v_add_f16_e64 v72, v77, v233
	v_add_f16_e32 v74, v81, v78
	v_add_f16_e64 v77, v218, v148
	v_add_f16_e64 v78, v164, v151
	;; [unrolled: 1-line block ×10, first 2 shown]
	v_mul_f16_e64 v201, 0xb482, v144
	v_mul_f16_e64 v202, 0xb482, v146
	v_fma_f16 v254, v141, 0xb93d, -v199
	v_fma_f16 v255, 0xb93d, v143, v200
	v_add_f16_e64 v40, v252, v40
	v_add_f16_e64 v39, v253, v39
	v_add_f16_e32 v37, v37, v55
	v_add_f16_e64 v38, v38, v159
	v_fma_f16 v226, 0x3abb, v21, v14
	v_fma_f16 v50, v21, 0xb93d, -v170
	v_fmac_f16_e64 v170, 0xb93d, v21
	v_fma_f16 v247, v145, 0x3abb, -v192
	v_fma_f16 v248, 0x3abb, v149, v193
	v_fma_f16 v249, v145, 0xb93d, -v194
	v_fma_f16 v250, 0xb93d, v149, v195
	v_add_f16_e32 v62, v82, v62
	v_add_f16_e64 v41, v222, v77
	v_add_f16_e64 v77, v167, v78
	;; [unrolled: 1-line block ×10, first 2 shown]
	v_fma_f16 v98, v145, 0xbbad, -v201
	v_fma_f16 v68, 0xbbad, v149, v202
	v_add_f16_e64 v40, v254, v40
	v_add_f16_e64 v39, v255, v39
	v_add_f16_e32 v37, v37, v58
	v_add_f16_e64 v38, v38, v160
	v_mul_f16_e64 v207, 0xb853, v138
	v_add_f16_e64 v42, v226, v41
	v_add_f16_e64 v41, v170, v77
	;; [unrolled: 1-line block ×6, first 2 shown]
	v_add_f16_e32 v40, v98, v40
	v_add_f16_e32 v39, v68, v39
	;; [unrolled: 1-line block ×3, first 2 shown]
	v_add_f16_e64 v38, v38, v162
	v_mul_f16_e64 v136, 0xba0c, v136
	v_mul_f16_e64 v138, 0xba0c, v138
	;; [unrolled: 1-line block ×3, first 2 shown]
	v_fma_f16 v85, 0x3abb, v139, v207
	v_pack_b32_f16 v55, v55, v61
	v_pack_b32_f16 v58, v77, v58
	;; [unrolled: 1-line block ×4, first 2 shown]
	v_mul_f16_e64 v171, 0x3b47, v46
	v_mul_f16_e64 v209, 0xb482, v142
	ds_store_2addr_b32 v109, v55, v58 offset0:4 offset1:6
	ds_store_2addr_b32 v109, v60, v61 offset1:2
	v_fma_f16 v55, v137, 0xb93d, -v136
	v_fma_f16 v58, 0xb93d, v139, v138
	v_add_f16_e32 v60, v85, v70
	v_fma_f16 v61, v141, 0xbbad, -v208
	v_mul_f16_e64 v70, 0x3b47, v140
	v_mul_f16_e64 v172, 0xbbeb, v46
	v_fma_f16 v227, v21, 0x36a6, -v171
	v_fma_f16 v68, 0xbbad, v143, v209
	v_add_f16_e32 v55, v55, v72
	v_add_f16_e32 v58, v58, v74
	;; [unrolled: 1-line block ×3, first 2 shown]
	v_mul_f16_e64 v62, 0x3b47, v142
	v_fma_f16 v72, v141, 0x36a6, -v70
	v_mul_f16_e64 v74, 0x3b47, v146
	v_fma_f16 v228, v21, 0xb08e, -v172
	v_fmac_f16_e64 v171, 0x36a6, v21
	v_add_f16_e64 v37, v227, v78
	v_add_f16_e32 v60, v68, v60
	v_mul_f16_e64 v68, 0x3b47, v144
	v_mul_f16_e64 v77, 0xbbeb, v144
	v_fma_f16 v78, 0x36a6, v143, v62
	v_add_f16_e32 v55, v72, v55
	v_fma_f16 v72, 0x36a6, v149, v74
	v_add_f16_e64 v38, v228, v82
	v_add_f16_e64 v40, v171, v81
	v_fma_f16 v81, v145, 0x36a6, -v68
	v_fma_f16 v82, v145, 0xb08e, -v77
	v_add_f16_e32 v58, v78, v58
	v_fma_f16 v78, v133, 0xb93d, -v204
	v_add_f16_e32 v60, v72, v60
	;; [unrolled: 2-line block ×3, first 2 shown]
	v_add_f16_e32 v55, v82, v55
	v_fmac_f16_e64 v203, 0xb08e, v131
	v_add_f16_e32 v78, v59, v78
	v_fma_f16 v81, v135, 0xb08e, -v205
	v_fmac_f16_e64 v110, 0x3abb, v131
	v_add_f16_e32 v72, v59, v72
	v_fma_f16 v82, v135, 0x3abb, -v134
	v_mul_f16_e64 v85, 0xbbeb, v146
	v_add_f16_e64 v98, v203, v176
	v_add_f16_e32 v78, v81, v78
	v_add_f16_e32 v13, v110, v13
	v_add_f16_e32 v72, v82, v72
	v_fmac_f16_e64 v206, 0x3abb, v137
	v_fma_f16 v81, v139, 0x3abb, -v207
	v_fmac_f16_e64 v136, 0xb93d, v137
	v_fma_f16 v82, v139, 0xb93d, -v138
	v_fma_f16 v110, 0xb08e, v149, v85
	v_add_f16_e64 v98, v206, v98
	v_add_f16_e32 v78, v81, v78
	v_add_f16_e64 v13, v136, v13
	v_add_f16_e32 v72, v82, v72
	v_fmac_f16_e64 v208, 0xbbad, v141
	v_fma_f16 v81, v143, 0xbbad, -v209
	v_fmac_f16_e64 v70, 0x36a6, v141
	v_fma_f16 v62, v143, 0x36a6, -v62
	v_add_f16_e32 v58, v110, v58
	v_add_f16_e64 v82, v208, v98
	v_add_f16_e32 v78, v81, v78
	v_add_f16_e32 v13, v70, v13
	;; [unrolled: 1-line block ×3, first 2 shown]
	v_fmac_f16_e64 v68, 0x36a6, v145
	v_fmac_f16_e64 v77, 0xb08e, v145
	v_fma_f16 v70, v149, 0xb08e, -v85
	v_fma_f16 v72, v149, 0x36a6, -v74
	v_pack_b32_f16 v74, v61, v60
	v_add_f16_e32 v60, v68, v82
	v_add_f16_e32 v13, v77, v13
	;; [unrolled: 1-line block ×4, first 2 shown]
	v_pack_b32_f16 v68, v55, v58
	v_fma_f16 v55, v133, 0x36a6, -v179
	v_fmac_f16_e64 v178, 0xb93d, v131
	v_pack_b32_f16 v70, v13, v61
	v_pack_b32_f16 v72, v60, v62
	v_fma_f16 v13, v133, 0xb08e, -v182
	v_add_f16_e32 v55, v59, v55
	v_fma_f16 v60, v135, 0xb93d, -v180
	v_fma_f16 v61, v135, 0xbbad, -v183
	;; [unrolled: 1-line block ×3, first 2 shown]
	v_add_f16_e32 v13, v59, v13
	v_fmac_f16_e64 v181, 0xbbad, v131
	v_add_f16_e32 v55, v60, v55
	v_add_f16_e64 v58, v178, v174
	v_fmac_f16_e64 v184, 0xbbad, v137
	v_add_f16_e32 v13, v61, v13
	v_fma_f16 v61, v139, 0x36a6, -v187
	v_add_f16_e32 v55, v62, v55
	v_fma_f16 v62, v143, 0xb08e, -v189
	v_add_f16_e64 v60, v181, v175
	v_fmac_f16_e64 v186, 0x36a6, v137
	v_add_f16_e32 v13, v61, v13
	v_fma_f16 v61, v143, 0x3abb, -v191
	v_add_f16_e32 v55, v62, v55
	v_fma_f16 v62, v133, 0x3abb, -v150
	v_add_f16_e64 v58, v184, v58
	v_fmac_f16_e64 v188, 0xb08e, v141
	v_add_f16_e64 v60, v186, v60
	v_fmac_f16_e64 v190, 0x3abb, v141
	v_add_f16_e32 v13, v61, v13
	v_add_f16_e32 v59, v59, v62
	v_fma_f16 v61, v135, 0x36a6, -v196
	v_add_f16_e64 v58, v188, v58
	v_fmac_f16_e64 v192, 0x3abb, v145
	v_add_f16_e64 v60, v190, v60
	v_fmac_f16_e64 v194, 0xb93d, v145
	v_fmac_f16_e64 v147, 0x36a6, v131
	v_fma_f16 v62, v149, 0xb93d, -v195
	v_fma_f16 v78, v149, 0x3abb, -v193
	v_add_f16_e32 v59, v61, v59
	v_fma_f16 v61, v139, 0xb08e, -v198
	v_add_f16_e64 v58, v192, v58
	v_add_f16_e64 v60, v194, v60
	;; [unrolled: 1-line block ×3, first 2 shown]
	v_fmac_f16_e64 v197, 0xb08e, v137
	v_add_f16_e32 v13, v62, v13
	v_add_f16_e32 v55, v78, v55
	;; [unrolled: 1-line block ×3, first 2 shown]
	v_fma_f16 v61, v143, 0xb93d, -v200
	v_add_f16_e64 v62, v197, v77
	v_fmac_f16_e64 v199, 0xb93d, v141
	v_pack_b32_f16 v77, v60, v13
	v_pack_b32_f16 v78, v58, v55
	v_add_f16_e32 v58, v61, v59
	v_sub_f16_e64 v59, v130, v28
	v_fma_f16 v60, v149, 0xbbad, -v202
	v_add_f16_e64 v13, v199, v62
	v_fmac_f16_e64 v201, 0xbbad, v145
	v_mul_f16_e32 v55, 0xb853, v54
	v_add_f16_e64 v135, v126, v63
	v_mul_f16_e64 v131, 0xb853, v59
	v_add_f16_e32 v54, v60, v58
	v_sub_f16_e64 v58, v129, v29
	v_add_f16_e64 v61, v201, v13
	v_mul_f16_e32 v13, 0xbb47, v51
	v_fmamk_f16 v60, v27, 0x3abb, v55
	v_fma_f16 v62, v135, 0x3abb, -v131
	v_lshrrev_b32_e32 v132, 16, v12
	v_add_f16_e64 v146, v125, v64
	v_mul_f16_e32 v51, 0xbb47, v58
	v_add_f16_e32 v60, v12, v60
	v_fmamk_f16 v81, v25, 0x36a6, v13
	v_mul_f16_e64 v134, 0xbb47, v59
	v_add_f16_e64 v62, v132, v62
	v_fma_f16 v82, v146, 0x36a6, -v51
	v_mul_f16_e32 v85, 0xbbeb, v59
	v_add_f16_e32 v60, v81, v60
	v_fma_f16 v81, v135, 0x36a6, -v134
	v_mul_f16_e64 v145, 0xba0c, v58
	v_add_f16_e32 v62, v82, v62
	v_fma_f16 v82, 0xb08e, v135, v85
	v_mul_f16_e32 v98, 0x3482, v58
	v_add_f16_e64 v81, v132, v81
	v_fma_f16 v110, v146, 0xb93d, -v145
	v_add_f16_e64 v133, v12, v211
	v_add_f16_e64 v82, v132, v82
	v_fma_f16 v136, 0xbbad, v146, v98
	v_mul_f16_e64 v137, 0xba0c, v59
	v_fma_f16 v85, v135, 0xb08e, -v85
	v_add_f16_e32 v81, v110, v81
	v_add_f16_e64 v110, v214, v133
	v_add_f16_e64 v82, v136, v82
	v_fma_f16 v133, 0xb93d, v135, v137
	v_add_f16_e64 v85, v132, v85
	v_mul_f16_e64 v136, 0x3beb, v58
	v_fma_f16 v98, v146, 0xbbad, -v98
	v_fma_f16 v137, v135, 0xb93d, -v137
	v_mul_f16_e32 v59, 0xb482, v59
	v_mul_f16_e32 v58, 0x3853, v58
	v_fma_f16 v138, 0xb08e, v146, v136
	v_add_f16_e32 v85, v98, v85
	v_add_f16_e64 v98, v132, v137
	v_fma_f16 v136, v146, 0xb08e, -v136
	v_fma_f16 v137, 0xbbad, v135, v59
	v_fmac_f16_e64 v172, 0xb08e, v21
	v_add_f16_e64 v133, v132, v133
	v_fma_f16 v59, v135, 0xbbad, -v59
	v_add_f16_e64 v98, v136, v98
	v_add_f16_e64 v136, v132, v137
	v_sub_f16_e64 v137, v128, v30
	v_fma_f16 v139, 0x3abb, v146, v58
	v_mul_f16_e32 v48, 0xbbeb, v48
	v_add_f16_e64 v39, v172, v148
	v_add_f16_e64 v138, v138, v133
	v_add_f16_e64 v59, v132, v59
	v_add_f16_e64 v150, v124, v65
	v_mul_f16_e64 v133, 0xbbeb, v137
	v_fma_f16 v58, v146, 0x3abb, -v58
	v_add_f16_e64 v136, v139, v136
	v_mul_f16_e64 v148, 0x3482, v137
	v_fma_f16 v139, 0xb08e, v24, v48
	v_fma_f16 v140, v150, 0xb08e, -v133
	v_add_f16_e32 v58, v58, v59
	v_mul_f16_e64 v59, 0x3b47, v137
	v_fma_f16 v141, v150, 0xbbad, -v148
	v_add_f16_e64 v60, v139, v60
	v_mul_f16_e64 v139, 0xb853, v137
	v_add_f16_e64 v62, v140, v62
	v_fma_f16 v140, 0x36a6, v150, v59
	v_add_f16_e64 v81, v141, v81
	v_fma_f16 v59, v150, 0x36a6, -v59
	v_fma_f16 v141, 0x3abb, v150, v139
	v_fma_f16 v139, v150, 0x3abb, -v139
	v_mul_f16_e64 v137, 0xba0c, v137
	v_add_f16_e64 v154, v123, v66
	v_add_f16_e32 v59, v59, v85
	v_add_f16_e64 v85, v141, v138
	v_sub_f16_e64 v138, v127, v49
	v_add_f16_e64 v98, v139, v98
	v_fma_f16 v139, 0xb93d, v150, v137
	v_fma_f16 v137, v150, 0xb93d, -v137
	v_add_f16_e64 v82, v140, v82
	v_mul_f16_e64 v147, 0xba0c, v138
	v_mul_f16_e32 v47, 0xba0c, v47
	v_add_f16_e64 v136, v139, v136
	v_add_f16_e64 v58, v137, v58
	v_mul_f16_e64 v137, 0xb853, v138
	v_fma_f16 v140, v154, 0xb93d, -v147
	v_mul_f16_e64 v151, 0x3beb, v138
	v_fma_f16 v139, 0xb93d, v23, v47
	v_mul_f16_e32 v46, 0xb482, v46
	v_add_f16_e64 v153, v112, v111
	v_add_f16_e64 v62, v140, v62
	v_fma_f16 v140, 0x3abb, v154, v137
	v_fma_f16 v137, v154, 0x3abb, -v137
	v_fma_f16 v141, v154, 0xb08e, -v151
	v_add_f16_e64 v60, v139, v60
	v_mul_f16_e64 v139, 0xb482, v138
	v_mul_f16_e64 v138, 0x3b47, v138
	v_add_f16_e64 v59, v137, v59
	v_sub_f16_e64 v137, v56, v52
	v_add_f16_e64 v81, v141, v81
	v_fma_f16 v141, 0xbbad, v154, v139
	v_add_f16_e64 v82, v140, v82
	v_fma_f16 v139, v154, 0xbbad, -v139
	v_fma_f16 v140, 0x36a6, v154, v138
	v_mul_f16_e64 v149, 0xb482, v137
	v_fma_f16 v138, v154, 0x36a6, -v138
	v_mul_f16_e64 v152, 0x3853, v137
	v_add_f16_e64 v85, v141, v85
	v_add_f16_e64 v98, v139, v98
	;; [unrolled: 1-line block ×3, first 2 shown]
	v_fma_f16 v139, 0xbbad, v21, v46
	v_fma_f16 v140, v153, 0xbbad, -v149
	v_mul_f16_e64 v141, 0xba0c, v137
	v_add_f16_e64 v58, v138, v58
	v_fma_f16 v138, v153, 0x3abb, -v152
	v_add_f16_e64 v110, v219, v110
	v_add_f16_e64 v142, v139, v60
	;; [unrolled: 1-line block ×3, first 2 shown]
	v_fma_f16 v60, 0xb93d, v153, v141
	v_mul_f16_e64 v62, 0x3b47, v137
	v_add_f16_e64 v143, v138, v81
	v_mul_f16_e64 v81, 0xbbeb, v137
	v_fma_f16 v137, v153, 0xb93d, -v141
	v_add_f16_e64 v110, v223, v110
	v_add_f16_e64 v140, v60, v82
	v_fma_f16 v60, 0x36a6, v153, v62
	v_fma_f16 v62, v153, 0x36a6, -v62
	v_fma_f16 v82, 0xb08e, v153, v81
	v_add_f16_e64 v141, v137, v59
	v_fma_f16 v59, v153, 0xb08e, -v81
	v_add_f16_e64 v138, v60, v85
	v_add_f16_e64 v139, v62, v98
	;; [unrolled: 1-line block ×3, first 2 shown]
	v_pack_b32_f16 v81, v61, v54
	v_add_f16_e64 v137, v59, v58
	v_add_nc_u32_e32 v59, 0x4d0, v45
	v_add_nc_u32_e32 v60, 0x738, v45
	;; [unrolled: 1-line block ×5, first 2 shown]
	v_add_f16_e32 v54, v50, v110
	v_lshrrev_b32_e32 v110, 1, v15
	ds_store_2addr_b32 v109, v74, v68 offset0:8 offset1:10
	ds_store_2addr_b32 v109, v70, v72 offset0:12 offset1:14
	;; [unrolled: 1-line block ×3, first 2 shown]
	ds_store_b32 v109, v81 offset:80
	s_and_saveexec_b32 s0, vcc_lo
	s_cbranch_execz .LBB0_5
; %bb.4:
	v_mul_f16_e32 v45, 0x3abb, v27
	v_mul_f16_e32 v27, 0x36a6, v27
	;; [unrolled: 1-line block ×6, first 2 shown]
	v_sub_f16_e32 v27, v27, v31
	v_mul_f16_e32 v82, 0xb93d, v23
	v_sub_f16_e32 v25, v25, v26
	v_mul_f16_e32 v23, 0xb08e, v23
	v_sub_f16_e32 v22, v24, v22
	v_add_f16_e32 v27, v12, v27
	v_add_f16_e64 v24, v132, v126
	v_mul_f16_e64 v50, 0x3abb, v135
	v_sub_f16_e32 v20, v23, v20
	v_mul_f16_e64 v72, 0x36a6, v146
	v_add_f16_e32 v25, v25, v27
	v_add_f16_e64 v27, v12, v130
	v_add_f16_e32 v24, v24, v125
	v_mul_f16_e64 v68, 0x36a6, v135
	v_mul_f16_e64 v78, 0xb08e, v150
	v_add_f16_e32 v22, v22, v25
	v_add_f16_e64 v27, v27, v129
	v_add_f16_e32 v24, v24, v124
	v_sub_f16_e32 v13, v70, v13
	v_mul_f16_e64 v74, 0xb93d, v146
	v_add_f16_e32 v20, v20, v22
	v_add_f16_e64 v25, v27, v128
	v_add_f16_e64 v27, v131, v50
	v_sub_f16_e32 v22, v45, v55
	v_add_f16_e32 v24, v24, v123
	v_add_f16_e32 v45, v51, v72
	;; [unrolled: 1-line block ×3, first 2 shown]
	v_add_f16_e64 v27, v132, v27
	v_add_f16_e32 v12, v12, v22
	v_add_f16_e32 v24, v24, v112
	v_add_f16_e64 v68, v134, v68
	v_add_f16_e32 v22, v25, v56
	v_mul_f16_e64 v85, 0xb93d, v154
	v_add_f16_e32 v25, v45, v27
	v_add_f16_e64 v27, v133, v78
	v_add_f16_e32 v12, v13, v12
	v_add_f16_e32 v22, v22, v52
	;; [unrolled: 1-line block ×3, first 2 shown]
	v_mul_f16_e64 v81, 0xbbad, v150
	v_add_f16_e64 v68, v132, v68
	v_add_f16_e64 v74, v145, v74
	v_mul_f16_e64 v26, 0xbbad, v153
	v_sub_f16_e32 v24, v77, v48
	v_add_f16_e32 v25, v27, v25
	v_add_f16_e32 v22, v22, v49
	v_add_f16_e64 v27, v147, v85
	v_add_f16_e32 v13, v13, v66
	v_mul_f16_e64 v31, 0xb08e, v154
	v_mul_f16_e32 v98, 0xbbad, v21
	v_add_f16_e32 v68, v74, v68
	v_add_f16_e64 v74, v148, v81
	v_add_f16_e32 v12, v24, v12
	v_sub_f16_e32 v24, v82, v47
	v_add_f16_e32 v22, v22, v30
	v_add_f16_e32 v25, v27, v25
	;; [unrolled: 1-line block ×3, first 2 shown]
	v_add_f16_e64 v26, v149, v26
	v_mul_f16_e32 v21, 0x3abb, v21
	v_add_f16_e32 v68, v74, v68
	v_add_f16_e64 v31, v151, v31
	v_mul_f16_e64 v74, 0x3abb, v153
	v_add_f16_e32 v12, v24, v12
	v_add_f16_e32 v22, v22, v29
	v_mul_u32_u24_e32 v24, 22, v110
	v_add_f16_e32 v13, v13, v64
	v_sub_f16_e32 v27, v98, v46
	v_add_f16_e32 v25, v26, v25
	v_and_b32_e32 v26, 1, v15
	v_add_f16_e32 v31, v31, v68
	v_add_f16_e64 v23, v152, v74
	v_add_f16_e32 v22, v22, v28
	v_add_f16_e32 v13, v13, v63
	v_or_b32_e32 v24, v24, v26
	v_add_f16_e32 v12, v27, v12
	v_sub_f16_e32 v14, v21, v14
	v_add_f16_e32 v21, v23, v31
	v_pack_b32_f16 v13, v22, v13
	v_lshl_add_u32 v23, v24, 2, v97
	v_pack_b32_f16 v12, v12, v25
	v_add_f16_e32 v14, v14, v20
	v_perm_b32 v20, v136, v38, 0x5040100
	v_perm_b32 v22, v139, v40, 0x5040100
	;; [unrolled: 1-line block ×3, first 2 shown]
	ds_store_2addr_b32 v23, v13, v12 offset1:2
	v_pack_b32_f16 v12, v14, v21
	v_perm_b32 v13, v140, v54, 0x5040100
	v_perm_b32 v14, v138, v37, 0x5040100
	;; [unrolled: 1-line block ×5, first 2 shown]
	ds_store_2addr_b32 v23, v12, v13 offset0:4 offset1:6
	ds_store_2addr_b32 v23, v14, v20 offset0:8 offset1:10
	;; [unrolled: 1-line block ×4, first 2 shown]
	ds_store_b32 v23, v26 offset:80
.LBB0_5:
	s_wait_alu 0xfffe
	s_or_b32 exec_lo, exec_lo, s0
	v_lshrrev_b16 v12, 1, v87
	v_lshrrev_b16 v13, 1, v15
	global_wb scope:SCOPE_SE
	s_wait_dscnt 0x0
	s_barrier_signal -1
	s_barrier_wait -1
	v_and_b32_e32 v12, 0x7f, v12
	v_and_b32_e32 v13, 0x7f, v13
	global_inv scope:SCOPE_SE
	v_add_nc_u32_e32 v160, 0x400, v89
	v_add_nc_u32_e32 v159, 0x600, v89
	v_mul_lo_u16 v12, 0xbb, v12
	v_add_nc_u32_e32 v158, 0x800, v89
	v_add_nc_u32_e32 v157, 0xc00, v89
	v_mad_co_u64_u32 v[63:64], null, v87, 24, s[10:11]
	s_delay_alu instid0(VALU_DEP_4) | instskip(SKIP_2) | instid1(VALU_DEP_2)
	v_lshrrev_b16 v65, 11, v12
	v_mul_lo_u16 v12, 0xbb, v13
	s_add_nc_u64 s[0:1], s[8:9], 0x10d8
	v_mul_lo_u16 v13, v65, 22
	s_delay_alu instid0(VALU_DEP_2) | instskip(SKIP_1) | instid1(VALU_DEP_3)
	v_lshrrev_b16 v66, 11, v12
	v_and_b32_e32 v65, 0xffff, v65
	v_sub_nc_u16 v12, v87, v13
	s_delay_alu instid0(VALU_DEP_3) | instskip(SKIP_1) | instid1(VALU_DEP_4)
	v_mul_lo_u16 v13, v66, 22
	v_and_b32_e32 v66, 0xffff, v66
	v_mul_u32_u24_e32 v65, 0x9a, v65
	s_delay_alu instid0(VALU_DEP_4) | instskip(NEXT) | instid1(VALU_DEP_4)
	v_and_b32_e32 v68, 0xff, v12
	v_sub_nc_u16 v14, v15, v13
	s_delay_alu instid0(VALU_DEP_4) | instskip(NEXT) | instid1(VALU_DEP_3)
	v_mul_u32_u24_e32 v66, 0x9a, v66
	v_mad_co_u64_u32 v[12:13], null, v68, 24, s[10:11]
	s_delay_alu instid0(VALU_DEP_3) | instskip(SKIP_1) | instid1(VALU_DEP_2)
	v_and_b32_e32 v70, 0xff, v14
	v_add_nc_u32_e32 v65, v65, v68
	v_mad_co_u64_u32 v[24:25], null, v70, 24, s[10:11]
	v_add_nc_u32_e32 v66, v66, v70
	s_delay_alu instid0(VALU_DEP_3)
	v_lshl_add_u32 v112, v65, 2, v97
	s_clause 0x3
	global_load_b128 v[20:23], v[12:13], off offset:80
	global_load_b64 v[47:48], v[12:13], off offset:96
	global_load_b128 v[12:15], v[24:25], off offset:80
	global_load_b64 v[45:46], v[24:25], off offset:96
	ds_load_2addr_b32 v[24:25], v89 offset1:77
	ds_load_2addr_b32 v[26:27], v89 offset0:154 offset1:231
	ds_load_2addr_b32 v[28:29], v160 offset0:52 offset1:129
	;; [unrolled: 1-line block ×6, first 2 shown]
	v_lshl_add_u32 v111, v66, 2, v97
	global_wb scope:SCOPE_SE
	s_wait_loadcnt_dscnt 0x0
	s_barrier_signal -1
	s_barrier_wait -1
	global_inv scope:SCOPE_SE
	v_lshrrev_b32_e32 v81, 16, v28
	v_lshrrev_b32_e32 v82, 16, v30
	;; [unrolled: 1-line block ×26, first 2 shown]
	v_mul_f16_e64 v65, v74, v135
	v_mul_f16_e64 v66, v26, v135
	v_mul_f16_e64 v148, v81, v134
	v_mul_f16_e64 v149, v28, v134
	v_mul_f16_e64 v154, v98, v131
	v_mul_f16_e64 v155, v51, v131
	v_mul_f16_e64 v156, v123, v130
	v_mul_f16_e64 v161, v55, v130
	v_mul_f16_e64 v150, v82, v133
	v_mul_f16_e64 v151, v30, v133
	v_mul_f16_e64 v152, v85, v132
	v_mul_f16_e64 v153, v49, v132
	v_mul_f16_e64 v162, v78, v129
	v_mul_f16_e64 v163, v27, v129
	v_mul_f16_e64 v164, v145, v128
	v_mul_f16_e64 v165, v29, v128
	v_mul_f16_e64 v170, v70, v125
	v_mul_f16_e64 v171, v52, v125
	v_mul_f16_e64 v172, v147, v124
	v_mul_f16_e64 v173, v56, v124
	v_mul_f16_e64 v166, v146, v127
	v_mul_f16_e64 v167, v31, v127
	v_mul_f16_e64 v168, v68, v126
	v_mul_f16_e64 v169, v50, v126
	v_fma_f16 v26, v26, v20, -v65
	v_fmac_f16_e32 v66, v74, v20
	v_fma_f16 v28, v28, v21, -v148
	v_fmac_f16_e64 v149, v81, v21
	v_fma_f16 v51, v51, v47, -v154
	v_fmac_f16_e64 v155, v98, v47
	;; [unrolled: 2-line block ×11, first 2 shown]
	v_add_f16_e32 v65, v26, v55
	v_add_f16_e64 v68, v66, v161
	v_sub_f16_e32 v26, v26, v55
	v_sub_f16_e64 v55, v66, v161
	v_add_f16_e32 v66, v28, v51
	v_add_f16_e64 v70, v149, v155
	v_sub_f16_e32 v28, v28, v51
	v_sub_f16_e64 v51, v149, v155
	;; [unrolled: 4-line block ×3, first 2 shown]
	v_add_f16_e32 v81, v27, v56
	v_add_f16_e64 v82, v163, v173
	v_add_f16_e32 v85, v29, v52
	v_add_f16_e64 v98, v165, v171
	v_sub_f16_e32 v27, v27, v56
	v_sub_f16_e64 v56, v163, v173
	v_sub_f16_e32 v29, v29, v52
	v_sub_f16_e64 v52, v165, v171
	v_add_f16_e32 v123, v31, v50
	v_sub_f16_e32 v31, v50, v31
	v_sub_f16_e64 v50, v169, v167
	v_add_f16_e64 v146, v66, v65
	v_add_f16_e64 v147, v70, v68
	;; [unrolled: 1-line block ×3, first 2 shown]
	v_sub_f16_e64 v148, v66, v65
	v_sub_f16_e64 v149, v70, v68
	v_sub_f16_e32 v65, v65, v74
	v_sub_f16_e32 v68, v68, v78
	;; [unrolled: 1-line block ×4, first 2 shown]
	v_add_f16_e64 v150, v30, v28
	v_add_f16_e64 v151, v49, v51
	v_sub_f16_e64 v152, v30, v28
	v_sub_f16_e64 v153, v49, v51
	v_sub_f16_e32 v28, v28, v26
	v_sub_f16_e32 v51, v51, v55
	v_add_f16_e64 v154, v85, v81
	v_add_f16_e64 v155, v98, v82
	;; [unrolled: 1-line block ×4, first 2 shown]
	v_sub_f16_e64 v164, v31, v29
	v_sub_f16_e64 v165, v50, v52
	v_sub_f16_e32 v29, v29, v27
	v_sub_f16_e32 v52, v52, v56
	v_add_f16_e64 v74, v74, v146
	v_add_f16_e64 v78, v78, v147
	v_sub_f16_e32 v30, v26, v30
	v_sub_f16_e32 v49, v55, v49
	v_sub_f16_e64 v156, v85, v81
	v_sub_f16_e64 v161, v98, v82
	v_sub_f16_e32 v81, v81, v123
	v_sub_f16_e64 v82, v82, v145
	v_sub_f16_e32 v85, v123, v85
	v_sub_f16_e64 v98, v145, v98
	v_add_f16_e64 v26, v150, v26
	v_add_f16_e64 v55, v151, v55
	v_mul_f16_e32 v65, 0x3a52, v65
	v_mul_f16_e32 v68, 0x3a52, v68
	v_mul_f16_e64 v146, 0x2b26, v66
	v_mul_f16_e64 v147, 0x2b26, v70
	;; [unrolled: 1-line block ×6, first 2 shown]
	v_add_f16_e64 v123, v123, v154
	v_add_f16_e64 v145, v145, v155
	v_sub_f16_e32 v31, v27, v31
	v_sub_f16_e32 v50, v56, v50
	v_add_f16_e64 v27, v162, v27
	v_add_f16_e64 v56, v163, v56
	v_mul_f16_e64 v162, 0xb846, v164
	v_mul_f16_e64 v163, 0xb846, v165
	;; [unrolled: 1-line block ×4, first 2 shown]
	v_add_f16_e32 v24, v24, v74
	v_add_f16_e32 v72, v72, v78
	v_mul_f16_e32 v81, 0x3a52, v81
	v_mul_f16_e32 v82, 0x3a52, v82
	v_mul_f16_e64 v154, 0x2b26, v85
	v_mul_f16_e64 v155, 0x2b26, v98
	v_fmamk_f16 v66, v66, 0x2b26, v65
	v_fmamk_f16 v70, v70, 0x2b26, v68
	v_fma_f16 v146, v148, 0x39e0, -v146
	v_fma_f16 v147, v149, 0x39e0, -v147
	;; [unrolled: 1-line block ×4, first 2 shown]
	v_fma_f16 v148, 0x3574, v30, v150
	v_fma_f16 v149, 0x3574, v49, v151
	v_fma_f16 v28, v28, 0x3b00, -v150
	v_fma_f16 v51, v51, 0x3b00, -v151
	;; [unrolled: 1-line block ×4, first 2 shown]
	v_add_f16_e32 v25, v25, v123
	v_add_f16_e64 v77, v77, v145
	v_fma_f16 v152, 0x3574, v31, v162
	v_fma_f16 v153, 0x3574, v50, v163
	v_fma_f16 v29, v29, 0x3b00, -v162
	v_fma_f16 v52, v52, 0x3b00, -v163
	v_fma_f16 v31, v31, 0xb574, -v164
	v_fma_f16 v50, v50, 0xb574, -v165
	v_fmamk_f16 v74, v74, 0xbcab, v24
	v_fmamk_f16 v78, v78, 0xbcab, v72
	;; [unrolled: 1-line block ×4, first 2 shown]
	v_fma_f16 v150, v156, 0x39e0, -v154
	v_fma_f16 v151, v161, 0x39e0, -v155
	;; [unrolled: 1-line block ×4, first 2 shown]
	v_fmac_f16_e64 v148, 0x370e, v26
	v_fmac_f16_e64 v149, 0x370e, v55
	v_fmac_f16_e32 v28, 0x370e, v26
	v_fmac_f16_e32 v51, 0x370e, v55
	;; [unrolled: 1-line block ×4, first 2 shown]
	v_fmamk_f16 v26, v123, 0xbcab, v25
	v_fma_f16 v55, 0xbcab, v145, v77
	v_fmac_f16_e64 v152, 0x370e, v27
	v_fmac_f16_e64 v153, 0x370e, v56
	v_fmac_f16_e32 v29, 0x370e, v27
	v_fmac_f16_e32 v52, 0x370e, v56
	;; [unrolled: 1-line block ×4, first 2 shown]
	v_add_f16_e32 v27, v66, v74
	v_add_f16_e32 v56, v70, v78
	v_add_f16_e64 v66, v146, v74
	v_add_f16_e64 v70, v147, v78
	v_add_f16_e32 v65, v65, v74
	v_add_f16_e32 v68, v68, v78
	v_pack_b32_f16 v24, v24, v72
	v_pack_b32_f16 v25, v25, v77
	v_add_f16_e32 v72, v85, v26
	v_add_f16_e32 v74, v98, v55
	v_add_f16_e64 v77, v150, v26
	v_add_f16_e64 v78, v151, v55
	v_add_f16_e32 v26, v81, v26
	v_add_f16_e32 v55, v82, v55
	v_add_f16_e64 v81, v149, v27
	v_sub_f16_e64 v82, v56, v148
	v_add_f16_e32 v85, v49, v65
	v_sub_f16_e32 v98, v68, v30
	v_sub_f16_e32 v123, v66, v51
	v_add_f16_e64 v145, v28, v70
	v_add_f16_e32 v51, v51, v66
	v_sub_f16_e32 v28, v70, v28
	v_sub_f16_e32 v49, v65, v49
	v_add_f16_e32 v30, v30, v68
	v_sub_f16_e64 v27, v27, v149
	v_add_f16_e64 v56, v148, v56
	v_add_f16_e64 v65, v153, v72
	v_sub_f16_e64 v66, v74, v152
	v_add_f16_e32 v68, v50, v26
	v_sub_f16_e32 v70, v55, v31
	v_sub_f16_e64 v146, v77, v52
	v_add_f16_e64 v147, v29, v78
	v_add_f16_e32 v52, v52, v77
	v_sub_f16_e32 v29, v78, v29
	v_sub_f16_e32 v26, v26, v50
	v_add_f16_e32 v31, v31, v55
	v_sub_f16_e64 v50, v72, v153
	v_add_f16_e64 v55, v152, v74
	v_pack_b32_f16 v72, v81, v82
	v_pack_b32_f16 v74, v85, v98
	;; [unrolled: 1-line block ×12, first 2 shown]
	ds_store_2addr_b32 v112, v24, v72 offset1:22
	ds_store_2addr_b32 v112, v74, v77 offset0:44 offset1:66
	ds_store_2addr_b32 v112, v28, v30 offset0:88 offset1:110
	ds_store_b32 v112, v27 offset:528
	ds_store_2addr_b32 v111, v25, v49 offset1:22
	ds_store_2addr_b32 v111, v51, v56 offset0:44 offset1:66
	ds_store_2addr_b32 v111, v29, v26 offset0:88 offset1:110
	ds_store_b32 v111, v31 offset:528
	global_wb scope:SCOPE_SE
	s_wait_dscnt 0x0
	s_barrier_signal -1
	s_barrier_wait -1
	global_inv scope:SCOPE_SE
	s_clause 0x3
	global_load_b128 v[28:31], v[63:64], off offset:608
	global_load_b64 v[49:50], v[63:64], off offset:624
	global_load_b128 v[24:27], v[63:64], off offset:2456
	global_load_b64 v[51:52], v[63:64], off offset:2472
	ds_load_2addr_b32 v[55:56], v89 offset1:77
	ds_load_2addr_b32 v[64:65], v89 offset0:154 offset1:231
	ds_load_2addr_b32 v[161:162], v160 offset0:52 offset1:129
	;; [unrolled: 1-line block ×6, first 2 shown]
	v_lshl_add_u32 v123, v87, 2, v97
	v_add_nc_u32_e32 v63, 0x200, v89
	v_lshlrev_b32_e32 v68, 2, v87
	v_add_nc_u32_e32 v66, 0x300, v89
	s_delay_alu instid0(VALU_DEP_4)
	v_add_nc_u32_e32 v70, 0x900, v123
	s_wait_dscnt 0x6
	v_lshrrev_b32_e32 v72, 16, v55
	s_wait_dscnt 0x5
	v_lshrrev_b32_e32 v74, 16, v64
	;; [unrolled: 2-line block ×7, first 2 shown]
	v_lshrrev_b32_e32 v171, 16, v65
	v_lshrrev_b32_e32 v172, 16, v162
	;; [unrolled: 1-line block ×7, first 2 shown]
	s_wait_loadcnt 0x3
	v_lshrrev_b32_e32 v156, 16, v28
	v_lshrrev_b32_e32 v155, 16, v29
	v_lshrrev_b32_e32 v153, 16, v31
	s_wait_loadcnt 0x2
	v_lshrrev_b32_e32 v152, 16, v49
	v_lshrrev_b32_e32 v151, 16, v50
	v_lshrrev_b32_e32 v154, 16, v30
	;; [unrolled: 4-line block ×4, first 2 shown]
	v_mul_f16_e64 v177, v74, v156
	v_mul_f16_e64 v178, v64, v156
	v_mul_f16_e64 v179, v77, v155
	v_mul_f16_e64 v180, v161, v155
	v_mul_f16_e64 v184, v165, v153
	v_mul_f16_e64 v185, v82, v152
	v_mul_f16_e64 v186, v167, v152
	v_mul_f16_e64 v187, v85, v151
	v_mul_f16_e64 v188, v169, v151
	v_mul_f16_e64 v181, v78, v154
	v_mul_f16_e64 v182, v163, v154
	v_mul_f16_e64 v183, v81, v153
	v_mul_f16_e64 v189, v171, v150
	v_mul_f16_e64 v190, v65, v150
	v_mul_f16_e64 v191, v172, v149
	v_mul_f16_e64 v192, v162, v149
	v_mul_f16_e64 v193, v173, v148
	v_mul_f16_e64 v197, v175, v146
	v_mul_f16_e64 v198, v168, v146
	v_mul_f16_e64 v199, v176, v145
	v_mul_f16_e64 v200, v170, v145
	v_mul_f16_e64 v195, v174, v147
	v_fma_f16 v64, v64, v28, -v177
	v_fmac_f16_e64 v178, v74, v28
	v_fma_f16 v74, v161, v29, -v179
	v_fmac_f16_e64 v180, v77, v29
	v_fmac_f16_e64 v184, v81, v31
	v_fma_f16 v81, v167, v49, -v185
	v_fmac_f16_e64 v186, v82, v49
	v_fma_f16 v82, v169, v50, -v187
	v_fmac_f16_e64 v188, v85, v50
	v_mul_f16_e64 v194, v164, v148
	v_mul_f16_e64 v196, v166, v147
	v_fma_f16 v77, v163, v30, -v181
	v_fmac_f16_e64 v182, v78, v30
	v_fma_f16 v78, v165, v31, -v183
	v_fma_f16 v65, v65, v24, -v189
	v_fmac_f16_e64 v190, v171, v24
	v_fma_f16 v85, v162, v25, -v191
	v_fmac_f16_e64 v192, v172, v25
	v_fma_f16 v161, v164, v26, -v193
	v_fma_f16 v163, v168, v51, -v197
	v_fmac_f16_e64 v198, v175, v51
	v_fma_f16 v164, v170, v52, -v199
	v_fmac_f16_e64 v200, v176, v52
	v_fma_f16 v162, v166, v27, -v195
	v_add_f16_e64 v165, v64, v82
	v_add_f16_e64 v166, v178, v188
	;; [unrolled: 1-line block ×4, first 2 shown]
	v_fmac_f16_e64 v194, v173, v26
	v_fmac_f16_e64 v196, v174, v27
	v_sub_f16_e32 v64, v64, v82
	v_sub_f16_e64 v82, v178, v188
	v_sub_f16_e32 v74, v74, v81
	v_sub_f16_e64 v81, v180, v186
	v_add_f16_e64 v169, v77, v78
	v_add_f16_e64 v170, v182, v184
	v_sub_f16_e32 v77, v78, v77
	v_sub_f16_e64 v78, v184, v182
	v_add_f16_e64 v171, v65, v164
	v_add_f16_e64 v172, v190, v200
	;; [unrolled: 1-line block ×4, first 2 shown]
	v_sub_f16_e64 v65, v65, v164
	v_sub_f16_e64 v85, v85, v163
	v_add_f16_e64 v175, v161, v162
	v_sub_f16_e64 v161, v162, v161
	v_add_f16_e64 v177, v167, v165
	v_add_f16_e64 v178, v168, v166
	v_sub_f16_e64 v164, v190, v200
	v_sub_f16_e64 v163, v192, v198
	;; [unrolled: 1-line block ×3, first 2 shown]
	v_add_f16_e64 v176, v194, v196
	v_sub_f16_e64 v179, v167, v165
	v_sub_f16_e64 v180, v168, v166
	;; [unrolled: 1-line block ×6, first 2 shown]
	v_add_f16_e64 v181, v77, v74
	v_add_f16_e64 v182, v78, v81
	v_sub_f16_e64 v183, v77, v74
	v_sub_f16_e64 v184, v78, v81
	v_sub_f16_e32 v74, v74, v64
	v_sub_f16_e32 v81, v81, v82
	v_add_f16_e64 v185, v173, v171
	v_add_f16_e64 v186, v174, v172
	v_add_f16_e64 v189, v161, v85
	v_sub_f16_e64 v191, v161, v85
	v_sub_f16_e32 v85, v85, v65
	v_add_f16_e64 v169, v169, v177
	v_add_f16_e64 v170, v170, v178
	;; [unrolled: 1-line block ×3, first 2 shown]
	v_sub_f16_e64 v192, v162, v163
	v_sub_f16_e64 v163, v163, v164
	v_sub_f16_e32 v77, v64, v77
	v_sub_f16_e32 v78, v82, v78
	v_sub_f16_e64 v187, v173, v171
	v_sub_f16_e64 v188, v174, v172
	;; [unrolled: 1-line block ×6, first 2 shown]
	v_add_f16_e64 v64, v181, v64
	v_add_f16_e64 v82, v182, v82
	v_mul_f16_e64 v165, 0x3a52, v165
	v_mul_f16_e64 v166, 0x3a52, v166
	;; [unrolled: 1-line block ×8, first 2 shown]
	v_add_f16_e64 v175, v175, v185
	v_add_f16_e64 v176, v176, v186
	v_sub_f16_e64 v161, v65, v161
	v_add_f16_e64 v65, v189, v65
	v_mul_f16_e64 v189, 0xb846, v191
	v_mul_f16_e64 v191, 0x3b00, v85
	v_add_f16_e64 v55, v55, v169
	v_add_f16_e64 v72, v72, v170
	v_sub_f16_e64 v162, v164, v162
	v_add_f16_e64 v164, v190, v164
	v_mul_f16_e64 v190, 0xb846, v192
	v_mul_f16_e64 v192, 0x3b00, v163
	;; [unrolled: 1-line block ×6, first 2 shown]
	v_fma_f16 v167, 0x2b26, v167, v165
	v_fma_f16 v168, 0x2b26, v168, v166
	v_fma_f16 v177, v179, 0x39e0, -v177
	v_fma_f16 v178, v180, 0x39e0, -v178
	;; [unrolled: 1-line block ×4, first 2 shown]
	v_fma_f16 v179, 0x3574, v77, v181
	v_fma_f16 v180, 0x3574, v78, v182
	v_fma_f16 v74, v74, 0x3b00, -v181
	v_fma_f16 v81, v81, 0x3b00, -v182
	;; [unrolled: 1-line block ×4, first 2 shown]
	v_add_f16_e64 v56, v56, v175
	v_add_f16_e64 v98, v98, v176
	v_fma_f16 v183, 0x3574, v161, v189
	v_fma_f16 v85, v85, 0x3b00, -v189
	v_fma_f16 v161, v161, 0xb574, -v191
	v_fma_f16 v169, 0xbcab, v169, v55
	v_fma_f16 v170, 0xbcab, v170, v72
	v_fma_f16 v184, 0x3574, v162, v190
	v_fma_f16 v163, v163, 0x3b00, -v190
	v_fma_f16 v162, v162, 0xb574, -v192
	v_fma_f16 v173, 0x2b26, v173, v171
	v_fma_f16 v174, 0x2b26, v174, v172
	v_fma_f16 v181, v187, 0x39e0, -v185
	v_fma_f16 v182, v188, 0x39e0, -v186
	;; [unrolled: 1-line block ×4, first 2 shown]
	v_fmac_f16_e64 v179, 0x370e, v64
	v_fmac_f16_e64 v180, 0x370e, v82
	v_fmac_f16_e32 v74, 0x370e, v64
	v_fmac_f16_e32 v81, 0x370e, v82
	;; [unrolled: 1-line block ×4, first 2 shown]
	v_fma_f16 v64, 0xbcab, v175, v56
	v_fma_f16 v82, 0xbcab, v176, v98
	v_fmac_f16_e64 v183, 0x370e, v65
	v_fmac_f16_e32 v85, 0x370e, v65
	v_fmac_f16_e64 v161, 0x370e, v65
	v_pack_b32_f16 v55, v55, v72
	v_add_f16_e64 v65, v167, v169
	v_add_f16_e64 v72, v168, v170
	;; [unrolled: 1-line block ×4, first 2 shown]
	v_fmac_f16_e64 v184, 0x370e, v164
	v_fmac_f16_e64 v163, 0x370e, v164
	;; [unrolled: 1-line block ×3, first 2 shown]
	v_pack_b32_f16 v56, v56, v98
	v_add_f16_e64 v98, v177, v169
	v_add_f16_e64 v164, v178, v170
	;; [unrolled: 1-line block ×9, first 2 shown]
	v_sub_f16_e64 v172, v72, v179
	v_add_f16_e64 v173, v78, v165
	v_sub_f16_e64 v174, v166, v77
	v_sub_f16_e64 v175, v98, v81
	v_add_f16_e64 v176, v74, v164
	v_add_f16_e32 v81, v81, v98
	v_sub_f16_e64 v74, v164, v74
	v_sub_f16_e64 v78, v165, v78
	v_add_f16_e64 v77, v77, v166
	v_sub_f16_e64 v65, v65, v180
	v_add_f16_e64 v72, v179, v72
	v_add_f16_e64 v98, v184, v167
	v_sub_f16_e64 v164, v168, v183
	v_add_f16_e64 v165, v162, v64
	v_sub_f16_e64 v166, v82, v161
	v_sub_f16_e64 v177, v169, v163
	v_add_f16_e64 v178, v85, v170
	v_add_f16_e64 v163, v163, v169
	v_sub_f16_e64 v85, v170, v85
	v_sub_f16_e64 v64, v64, v162
	v_add_f16_e64 v82, v161, v82
	v_sub_f16_e64 v161, v167, v184
	v_add_f16_e64 v162, v183, v168
	v_pack_b32_f16 v167, v171, v172
	v_pack_b32_f16 v168, v173, v174
	;; [unrolled: 1-line block ×12, first 2 shown]
	ds_store_2addr_b32 v63, v167, v168 offset0:26 offset1:180
	ds_store_b32 v89, v169 offset:1848
	ds_store_2addr_b32 v70, v74, v77 offset0:40 offset1:194
	ds_store_b32 v123, v65 offset:3696
	ds_store_2addr_b32 v89, v55, v56 offset1:77
	ds_store_2addr_b32 v66, v72, v78 offset0:39 offset1:193
	ds_store_2addr_b32 v158, v81, v85 offset0:27 offset1:181
	;; [unrolled: 1-line block ×3, first 2 shown]
	global_wb scope:SCOPE_SE
	s_wait_dscnt 0x0
	s_barrier_signal -1
	s_barrier_wait -1
	global_inv scope:SCOPE_SE
	s_clause 0xd
	global_load_b32 v66, v[35:36], off offset:4312
	global_load_b32 v70, v68, s[0:1] offset:2156
	global_load_b32 v72, v68, s[0:1] offset:308
	;; [unrolled: 1-line block ×13, first 2 shown]
	ds_load_2addr_b32 v[35:36], v89 offset1:77
	ds_load_2addr_b32 v[55:56], v159 offset0:78 offset1:155
	ds_load_2addr_b32 v[64:65], v158 offset0:104 offset1:181
	;; [unrolled: 1-line block ×6, first 2 shown]
	s_wait_dscnt 0x6
	v_lshrrev_b32_e32 v172, 16, v35
	v_lshrrev_b32_e32 v174, 16, v36
	s_wait_dscnt 0x4
	v_lshrrev_b32_e32 v175, 16, v64
	v_lshrrev_b32_e32 v177, 16, v65
	;; [unrolled: 1-line block ×3, first 2 shown]
	s_wait_dscnt 0x3
	v_lshrrev_b32_e32 v176, 16, v161
	v_lshrrev_b32_e32 v178, 16, v162
	s_wait_dscnt 0x2
	v_lshrrev_b32_e32 v179, 16, v163
	s_wait_dscnt 0x1
	v_lshrrev_b32_e32 v180, 16, v165
	v_lshrrev_b32_e32 v181, 16, v164
	;; [unrolled: 1-line block ×4, first 2 shown]
	s_wait_dscnt 0x0
	v_lshrrev_b32_e32 v183, 16, v167
	v_lshrrev_b32_e32 v185, 16, v168
	s_wait_loadcnt 0xd
	v_lshrrev_b32_e32 v186, 16, v66
	s_wait_loadcnt 0xc
	;; [unrolled: 2-line block ×14, first 2 shown]
	v_lshrrev_b32_e32 v199, 16, v68
	v_mul_f16_e64 v200, v172, v186
	v_mul_f16_e64 v186, v35, v186
	;; [unrolled: 1-line block ×28, first 2 shown]
	v_fma_f16 v35, v35, v66, -v200
	v_fmac_f16_e64 v186, v172, v66
	v_fma_f16 v36, v36, v72, -v202
	v_fmac_f16_e64 v188, v174, v72
	;; [unrolled: 2-line block ×14, first 2 shown]
	v_pack_b32_f16 v35, v35, v186
	v_pack_b32_f16 v36, v36, v188
	;; [unrolled: 1-line block ×14, first 2 shown]
	ds_store_2addr_b32 v89, v35, v36 offset1:77
	ds_store_2addr_b32 v158, v64, v65 offset0:104 offset1:181
	ds_store_2addr_b32 v89, v66, v68 offset0:154 offset1:231
	;; [unrolled: 1-line block ×6, first 2 shown]
	global_wb scope:SCOPE_SE
	s_wait_dscnt 0x0
	s_barrier_signal -1
	s_barrier_wait -1
	global_inv scope:SCOPE_SE
	ds_load_2addr_b32 v[64:65], v160 offset0:52 offset1:129
	ds_load_2addr_b32 v[55:56], v157 offset0:156 offset1:233
	;; [unrolled: 1-line block ×3, first 2 shown]
	ds_load_2addr_b32 v[163:164], v89 offset1:77
	ds_load_2addr_b32 v[165:166], v158 offset0:104 offset1:181
	ds_load_2addr_b32 v[167:168], v89 offset0:154 offset1:231
	;; [unrolled: 1-line block ×3, first 2 shown]
	global_wb scope:SCOPE_SE
	s_wait_dscnt 0x0
	s_barrier_signal -1
	s_barrier_wait -1
	global_inv scope:SCOPE_SE
	v_pk_add_f16 v36, v65, v55 neg_lo:[0,1] neg_hi:[0,1]
	v_pk_add_f16 v56, v161, v56 neg_lo:[0,1] neg_hi:[0,1]
	;; [unrolled: 1-line block ×7, first 2 shown]
	v_pk_fma_f16 v172, v163, 2.0, v173 op_sel_hi:[1,0,1] neg_lo:[0,0,1] neg_hi:[0,0,1]
	v_pk_fma_f16 v164, v164, 2.0, v165 op_sel_hi:[1,0,1] neg_lo:[0,0,1] neg_hi:[0,0,1]
	;; [unrolled: 1-line block ×7, first 2 shown]
	ds_store_b64 v53, v[172:173]
	ds_store_b64 v57, v[164:165]
	;; [unrolled: 1-line block ×7, first 2 shown]
	global_wb scope:SCOPE_SE
	s_wait_dscnt 0x0
	s_barrier_signal -1
	s_barrier_wait -1
	global_inv scope:SCOPE_SE
	ds_load_2addr_b32 v[57:58], v89 offset1:98
	ds_load_2addr_b32 v[65:66], v63 offset0:68 offset1:166
	ds_load_2addr_b32 v[63:64], v160 offset0:136 offset1:234
	;; [unrolled: 1-line block ×4, first 2 shown]
	ds_load_b32 v162, v89 offset:3920
	v_lshrrev_b32_e32 v161, 16, v55
	s_and_saveexec_b32 s0, vcc_lo
	s_cbranch_execz .LBB0_7
; %bb.6:
	ds_load_2addr_b32 v[35:36], v89 offset0:77 offset1:175
	ds_load_2addr_b32 v[53:54], v160 offset0:17 offset1:115
	;; [unrolled: 1-line block ×5, first 2 shown]
	ds_load_b32 v142, v89 offset:4228
	s_wait_dscnt 0x5
	v_lshrrev_b32_e32 v161, 16, v36
	s_wait_dscnt 0x4
	v_lshrrev_b32_e32 v140, 16, v54
	;; [unrolled: 2-line block ×3, first 2 shown]
	v_lshrrev_b32_e32 v136, 16, v38
	s_wait_dscnt 0x2
	v_lshrrev_b32_e32 v137, 16, v39
	v_lshrrev_b32_e32 v139, 16, v40
	s_wait_dscnt 0x1
	v_lshrrev_b32_e32 v141, 16, v41
	;; [unrolled: 3-line block ×3, first 2 shown]
	v_dual_mov_b32 v55, v36 :: v_dual_mov_b32 v56, v53
	v_mov_b32_e32 v36, v35
.LBB0_7:
	s_wait_alu 0xfffe
	s_or_b32 exec_lo, exec_lo, s0
	s_wait_dscnt 0x5
	v_lshrrev_b32_e32 v68, 16, v58
	s_wait_dscnt 0x4
	v_lshrrev_b32_e32 v70, 16, v65
	v_lshrrev_b32_e32 v72, 16, v66
	s_wait_dscnt 0x3
	v_lshrrev_b32_e32 v74, 16, v63
	v_lshrrev_b32_e32 v77, 16, v64
	v_mul_f16_e32 v85, v122, v68
	v_mul_f16_e64 v157, v121, v70
	v_mul_f16_e32 v122, v122, v58
	v_lshrrev_b32_e32 v53, 16, v57
	s_wait_dscnt 0x2
	v_lshrrev_b32_e32 v78, 16, v61
	v_fmac_f16_e32 v85, v16, v58
	v_mul_f16_e32 v58, v121, v65
	v_fmac_f16_e64 v157, v17, v65
	v_mul_f16_e32 v65, v120, v72
	v_fma_f16 v16, v16, v68, -v122
	v_mul_f16_e32 v68, v120, v66
	v_fma_f16 v17, v17, v70, -v58
	v_mul_f16_e32 v58, v119, v74
	v_mul_f16_e32 v70, v119, v63
	v_fmac_f16_e32 v65, v18, v66
	v_mul_f16_e32 v66, v118, v77
	v_fma_f16 v18, v18, v72, -v68
	v_fmac_f16_e32 v58, v19, v63
	v_fma_f16 v19, v19, v74, -v70
	v_mul_f16_e32 v63, v118, v64
	v_mul_f16_e32 v68, v117, v78
	v_fmac_f16_e32 v66, v8, v64
	v_add_f16_e32 v64, v57, v85
	v_add_f16_e32 v70, v53, v16
	v_lshrrev_b32_e32 v81, 16, v62
	v_fma_f16 v8, v8, v77, -v63
	v_fmac_f16_e32 v68, v9, v61
	v_mul_f16_e32 v61, v117, v61
	v_add_f16_e64 v63, v64, v157
	v_add_f16_e32 v64, v70, v17
	s_wait_dscnt 0x1
	v_lshrrev_b32_e32 v82, 16, v59
	v_mul_f16_e32 v70, v116, v81
	v_fma_f16 v9, v9, v78, -v61
	v_add_f16_e32 v61, v63, v65
	v_add_f16_e32 v63, v64, v18
	v_mul_f16_e32 v72, v116, v62
	v_fmac_f16_e32 v70, v10, v62
	v_mul_f16_e32 v62, v115, v82
	v_add_f16_e32 v61, v61, v58
	v_add_f16_e32 v63, v63, v19
	v_lshrrev_b32_e32 v98, 16, v60
	v_mul_f16_e32 v64, v115, v59
	v_fmac_f16_e32 v62, v11, v59
	v_add_f16_e32 v59, v61, v66
	v_add_f16_e32 v61, v63, v8
	v_fma_f16 v10, v10, v81, -v72
	v_mul_f16_e32 v72, v113, v98
	s_wait_dscnt 0x0
	v_lshrrev_b32_e32 v158, 16, v162
	v_fma_f16 v11, v11, v82, -v64
	v_add_f16_e32 v61, v61, v9
	v_mul_f16_e64 v63, v114, v162
	v_fmac_f16_e32 v72, v43, v60
	v_mul_f16_e32 v60, v113, v60
	v_add_f16_e32 v59, v59, v68
	v_add_f16_e32 v61, v61, v10
	v_mul_f16_e64 v64, v114, v158
	v_fma_f16 v63, v44, v158, -v63
	v_fma_f16 v43, v43, v98, -v60
	v_add_f16_e32 v59, v59, v70
	v_add_f16_e32 v60, v61, v11
	v_fmac_f16_e64 v64, v44, v162
	v_sub_f16_e32 v44, v16, v63
	v_add_f16_e32 v16, v16, v63
	v_add_f16_e32 v59, v59, v62
	;; [unrolled: 1-line block ×4, first 2 shown]
	v_mul_f16_e32 v74, 0xb853, v44
	v_sub_f16_e32 v77, v85, v64
	v_mul_f16_e32 v78, 0x3abb, v16
	v_add_f16_e32 v60, v60, v63
	v_mul_f16_e32 v63, 0xbb47, v44
	v_mul_f16_e32 v85, 0x36a6, v16
	;; [unrolled: 1-line block ×8, first 2 shown]
	v_sub_f16_e32 v122, v17, v43
	v_add_f16_e32 v59, v59, v72
	v_fmamk_f16 v81, v61, 0x3abb, v74
	v_fma_f16 v74, v61, 0x3abb, -v74
	v_fmamk_f16 v82, v61, 0x36a6, v63
	v_fma_f16 v63, v61, 0x36a6, -v63
	v_fmamk_f16 v115, v61, 0xb08e, v98
	v_fma_f16 v98, v61, 0xb08e, -v98
	v_fmamk_f16 v119, v61, 0xb93d, v117
	v_fma_f16 v117, v61, 0xb93d, -v117
	v_fmamk_f16 v121, v61, 0xbbad, v44
	v_fma_f16 v158, 0x3482, v77, v16
	v_fma_f16 v44, v61, 0xbbad, -v44
	v_add_f16_e32 v17, v17, v43
	v_add_f16_e64 v43, v157, v72
	v_mul_f16_e32 v61, 0xbb47, v122
	v_add_f16_e32 v59, v59, v64
	v_fmamk_f16 v64, v77, 0x3853, v78
	v_add_f16_e32 v81, v57, v81
	v_fmac_f16_e32 v78, 0xb853, v77
	v_fmamk_f16 v113, v77, 0x3b47, v85
	v_fmac_f16_e32 v85, 0xbb47, v77
	v_fmamk_f16 v116, v77, 0x3beb, v114
	;; [unrolled: 2-line block ×3, first 2 shown]
	v_fmac_f16_e32 v118, 0xba0c, v77
	v_fmac_f16_e32 v16, 0xb482, v77
	v_sub_f16_e64 v72, v157, v72
	v_mul_f16_e32 v77, 0x36a6, v17
	v_add_f16_e64 v157, v53, v158
	v_fma_f16 v158, 0x36a6, v43, v61
	v_add_f16_e32 v64, v53, v64
	v_add_f16_e32 v74, v57, v74
	;; [unrolled: 1-line block ×18, first 2 shown]
	v_fmamk_f16 v53, v72, 0x3b47, v77
	v_mul_f16_e32 v57, 0xba0c, v122
	v_add_f16_e64 v81, v158, v81
	v_fma_f16 v61, v43, 0x36a6, -v61
	v_fmac_f16_e32 v77, 0xbb47, v72
	v_mul_f16_e64 v158, 0xb93d, v17
	v_add_f16_e32 v53, v53, v64
	v_fmamk_f16 v64, v43, 0xb93d, v57
	v_add_f16_e32 v61, v61, v74
	v_add_f16_e32 v74, v77, v78
	v_mul_f16_e32 v77, 0x3482, v122
	v_fma_f16 v78, 0x3a0c, v72, v158
	v_fma_f16 v57, v43, 0xb93d, -v57
	v_fmac_f16_e64 v158, 0xba0c, v72
	v_mul_f16_e64 v159, 0xbbad, v17
	v_add_f16_e32 v64, v64, v82
	v_fmamk_f16 v82, v43, 0xbbad, v77
	v_add_f16_e32 v78, v78, v113
	v_add_f16_e32 v57, v57, v63
	v_add_f16_e64 v63, v158, v85
	v_fma_f16 v85, 0xb482, v72, v159
	v_mul_f16_e32 v113, 0x3beb, v122
	v_add_f16_e32 v82, v82, v115
	v_fma_f16 v77, v43, 0xbbad, -v77
	v_mul_f16_e32 v115, 0xb08e, v17
	v_add_f16_e32 v85, v85, v116
	v_fmamk_f16 v116, v43, 0xb08e, v113
	v_mul_f16_e32 v122, 0x3853, v122
	v_fma_f16 v113, v43, 0xb08e, -v113
	v_add_f16_e32 v77, v77, v98
	v_fmamk_f16 v98, v72, 0xbbeb, v115
	v_add_f16_e32 v116, v116, v119
	v_fmac_f16_e32 v115, 0x3beb, v72
	v_fmamk_f16 v119, v43, 0x3abb, v122
	v_add_f16_e32 v113, v113, v117
	v_sub_f16_e32 v117, v18, v11
	v_add_f16_e32 v98, v98, v120
	v_mul_f16_e32 v17, 0x3abb, v17
	v_add_f16_e32 v115, v115, v118
	v_add_f16_e32 v118, v119, v121
	;; [unrolled: 1-line block ×3, first 2 shown]
	v_mul_f16_e32 v121, 0xbbeb, v117
	v_add_f16_e32 v11, v18, v11
	v_fmamk_f16 v119, v72, 0xb853, v17
	v_fma_f16 v18, v43, 0x3abb, -v122
	v_fmac_f16_e32 v17, 0x3853, v72
	v_sub_f16_e32 v43, v65, v62
	v_fmamk_f16 v62, v120, 0xb08e, v121
	v_mul_f16_e32 v65, 0xb08e, v11
	v_fmac_f16_e64 v159, 0x3482, v72
	v_add_f16_e64 v72, v119, v157
	v_add_f16_e32 v18, v18, v44
	v_add_f16_e32 v16, v17, v16
	;; [unrolled: 1-line block ×3, first 2 shown]
	v_fmamk_f16 v44, v43, 0x3beb, v65
	v_mul_f16_e32 v62, 0x3482, v117
	v_fma_f16 v81, v120, 0xb08e, -v121
	v_fmac_f16_e32 v65, 0xbbeb, v43
	v_mul_f16_e32 v119, 0xbbad, v11
	v_add_f16_e32 v44, v44, v53
	v_fmamk_f16 v53, v120, 0xbbad, v62
	v_add_f16_e32 v61, v81, v61
	v_add_f16_e32 v65, v65, v74
	v_fmamk_f16 v74, v43, 0xb482, v119
	v_mul_f16_e32 v81, 0x3b47, v117
	v_add_f16_e32 v53, v53, v64
	v_fma_f16 v62, v120, 0xbbad, -v62
	v_fmac_f16_e32 v119, 0x3482, v43
	v_add_f16_e32 v64, v74, v78
	v_fmamk_f16 v74, v120, 0x36a6, v81
	v_mul_f16_e32 v78, 0x36a6, v11
	v_add_f16_e32 v57, v62, v57
	v_add_f16_e32 v62, v119, v63
	v_mul_f16_e32 v63, 0xb853, v117
	v_add_f16_e32 v74, v74, v82
	v_fmamk_f16 v82, v43, 0xbb47, v78
	v_mul_f16_e32 v121, 0x3abb, v11
	v_add_f16_e64 v114, v159, v114
	v_fma_f16 v81, v120, 0x36a6, -v81
	v_fmac_f16_e32 v78, 0x3b47, v43
	v_fmamk_f16 v119, v120, 0x3abb, v63
	v_add_f16_e32 v82, v82, v85
	v_fmamk_f16 v85, v43, 0x3853, v121
	v_mul_f16_e32 v11, 0xb93d, v11
	v_fma_f16 v63, v120, 0x3abb, -v63
	v_fmac_f16_e32 v121, 0xb853, v43
	v_add_f16_e32 v77, v81, v77
	v_add_f16_e32 v78, v78, v114
	;; [unrolled: 1-line block ×3, first 2 shown]
	v_mul_f16_e32 v114, 0xba0c, v117
	v_fmamk_f16 v116, v43, 0x3a0c, v11
	v_add_f16_e32 v63, v63, v113
	v_add_f16_e32 v113, v121, v115
	v_sub_f16_e32 v115, v19, v10
	v_add_f16_e32 v10, v19, v10
	v_add_f16_e32 v85, v85, v98
	v_fmamk_f16 v98, v120, 0xb93d, v114
	v_add_f16_e32 v72, v116, v72
	v_add_f16_e32 v116, v58, v70
	v_mul_f16_e32 v19, 0xba0c, v115
	v_fma_f16 v114, v120, 0xb93d, -v114
	v_fmac_f16_e32 v11, 0xba0c, v43
	v_sub_f16_e32 v43, v58, v70
	v_mul_f16_e32 v58, 0xb93d, v10
	v_fmamk_f16 v70, v116, 0xb93d, v19
	v_add_f16_e32 v18, v114, v18
	v_add_f16_e32 v11, v11, v16
	v_mul_f16_e32 v16, 0x3beb, v115
	v_fmamk_f16 v114, v43, 0x3a0c, v58
	v_add_f16_e32 v17, v70, v17
	v_fma_f16 v19, v116, 0xb93d, -v19
	v_fmac_f16_e32 v58, 0xba0c, v43
	v_fmamk_f16 v70, v116, 0xb08e, v16
	v_add_f16_e32 v44, v114, v44
	v_mul_f16_e32 v114, 0xb08e, v10
	v_add_f16_e32 v19, v19, v61
	v_add_f16_e32 v58, v58, v65
	;; [unrolled: 1-line block ×3, first 2 shown]
	v_mul_f16_e32 v61, 0xb853, v115
	v_fmamk_f16 v65, v43, 0xbbeb, v114
	v_fma_f16 v16, v116, 0xb08e, -v16
	v_fmac_f16_e32 v114, 0x3beb, v43
	v_mul_f16_e32 v70, 0x3abb, v10
	v_fmamk_f16 v117, v116, 0x3abb, v61
	v_add_f16_e32 v64, v65, v64
	v_add_f16_e32 v16, v16, v57
	;; [unrolled: 1-line block ×3, first 2 shown]
	v_fmamk_f16 v62, v43, 0x3853, v70
	v_add_f16_e32 v65, v117, v74
	v_mul_f16_e32 v74, 0xb482, v115
	v_fma_f16 v61, v116, 0x3abb, -v61
	v_fmac_f16_e32 v70, 0xb853, v43
	v_add_f16_e32 v62, v62, v82
	v_mul_f16_e32 v82, 0xbbad, v10
	v_fmamk_f16 v114, v116, 0xbbad, v74
	v_add_f16_e32 v61, v61, v77
	v_add_f16_e32 v70, v70, v78
	v_mul_f16_e32 v77, 0x3b47, v115
	v_fmamk_f16 v78, v43, 0x3482, v82
	v_add_f16_e32 v98, v98, v118
	v_add_f16_e32 v81, v114, v81
	v_fma_f16 v74, v116, 0xbbad, -v74
	v_fmac_f16_e32 v82, 0xb482, v43
	v_fmamk_f16 v114, v116, 0x36a6, v77
	v_add_f16_e32 v78, v78, v85
	v_mul_f16_e32 v10, 0x36a6, v10
	v_sub_f16_e32 v85, v8, v9
	v_add_f16_e32 v8, v8, v9
	v_add_f16_e32 v63, v74, v63
	v_add_f16_e32 v74, v82, v113
	v_add_f16_e32 v82, v114, v98
	v_fmamk_f16 v98, v43, 0xbb47, v10
	v_fma_f16 v77, v116, 0x36a6, -v77
	v_add_f16_e32 v9, v66, v68
	v_mul_f16_e32 v113, 0xb482, v85
	v_fmac_f16_e32 v10, 0x3b47, v43
	v_sub_f16_e32 v43, v66, v68
	v_mul_f16_e32 v66, 0xbbad, v8
	v_add_f16_e32 v68, v98, v72
	v_fmamk_f16 v72, v9, 0xbbad, v113
	v_add_f16_e32 v18, v77, v18
	v_add_f16_e32 v10, v10, v11
	v_fmamk_f16 v11, v43, 0x3482, v66
	v_mul_f16_e32 v77, 0x3853, v85
	v_fmac_f16_e32 v66, 0xb482, v43
	v_add_f16_e32 v17, v72, v17
	v_fma_f16 v72, v9, 0xbbad, -v113
	v_add_f16_e32 v11, v11, v44
	v_fmamk_f16 v44, v9, 0x3abb, v77
	v_mul_f16_e32 v98, 0x3abb, v8
	v_add_f16_e32 v58, v66, v58
	v_mul_f16_e32 v66, 0xba0c, v85
	v_add_f16_e32 v19, v72, v19
	v_add_f16_e32 v44, v44, v53
	v_fmamk_f16 v53, v43, 0xb853, v98
	v_fma_f16 v72, v9, 0x3abb, -v77
	v_fmamk_f16 v77, v9, 0xb93d, v66
	v_mul_f16_e32 v113, 0xb93d, v8
	v_fma_f16 v66, v9, 0xb93d, -v66
	v_add_f16_e32 v53, v53, v64
	v_add_f16_e32 v16, v72, v16
	;; [unrolled: 1-line block ×3, first 2 shown]
	v_fmamk_f16 v65, v43, 0x3a0c, v113
	v_mul_f16_e32 v72, 0x3b47, v85
	v_fmac_f16_e32 v113, 0xba0c, v43
	v_mul_f16_e32 v77, 0x36a6, v8
	v_add_f16_e32 v61, v66, v61
	v_add_f16_e32 v62, v65, v62
	v_fmamk_f16 v65, v9, 0x36a6, v72
	v_add_f16_e32 v66, v113, v70
	v_fmamk_f16 v70, v43, 0xbb47, v77
	v_mul_f16_e32 v8, 0xb08e, v8
	v_fma_f16 v72, v9, 0x36a6, -v72
	v_add_f16_e32 v65, v65, v81
	v_mul_f16_e32 v81, 0xbbeb, v85
	v_add_f16_e32 v70, v70, v78
	v_fmamk_f16 v78, v43, 0x3beb, v8
	v_fmac_f16_e32 v8, 0xbbeb, v43
	v_add_f16_e32 v63, v72, v63
	v_fmamk_f16 v72, v9, 0xb08e, v81
	v_fmac_f16_e32 v77, 0x3b47, v43
	v_fma_f16 v9, v9, 0xb08e, -v81
	v_fmac_f16_e32 v98, 0x3853, v43
	v_add_f16_e32 v8, v8, v10
	v_pack_b32_f16 v10, v59, v60
	v_pack_b32_f16 v11, v17, v11
	v_add_f16_e32 v72, v72, v82
	v_add_f16_e32 v68, v78, v68
	;; [unrolled: 1-line block ×5, first 2 shown]
	v_add_nc_u32_e32 v35, 0x134, v89
	global_wb scope:SCOPE_SE
	s_barrier_signal -1
	s_barrier_wait -1
	global_inv scope:SCOPE_SE
	ds_store_2addr_b32 v109, v10, v11 offset1:2
	v_pack_b32_f16 v10, v44, v53
	v_pack_b32_f16 v11, v64, v62
	;; [unrolled: 1-line block ×9, first 2 shown]
	ds_store_2addr_b32 v109, v10, v11 offset0:4 offset1:6
	ds_store_2addr_b32 v109, v17, v18 offset0:8 offset1:10
	;; [unrolled: 1-line block ×4, first 2 shown]
	ds_store_b32 v109, v19 offset:80
	s_and_saveexec_b32 s0, vcc_lo
	s_cbranch_execz .LBB0_9
; %bb.8:
	v_mul_f16_e64 v8, v108, v142
	v_mul_f16_e32 v9, v107, v55
	v_lshrrev_b32_e32 v17, 16, v56
	v_mul_f16_e32 v18, v105, v56
	v_mul_f16_e64 v10, v107, v161
	v_mul_f16_e64 v11, v108, v144
	v_fma_f16 v8, v34, v144, -v8
	v_fma_f16 v9, v4, v161, -v9
	v_mul_f16_e32 v16, v106, v42
	v_fma_f16 v18, v5, v17, -v18
	v_mul_f16_e32 v17, v105, v17
	v_fmac_f16_e32 v10, v4, v55
	v_add_f16_e32 v19, v8, v9
	v_fmac_f16_e64 v11, v34, v142
	v_fma_f16 v16, v33, v143, -v16
	v_mul_f16_e64 v34, v106, v143
	v_fmac_f16_e32 v17, v5, v56
	v_mul_f16_e32 v55, v104, v41
	v_mul_f16_e32 v56, v103, v54
	;; [unrolled: 1-line block ×3, first 2 shown]
	v_sub_f16_e32 v44, v10, v11
	v_add_f16_e32 v53, v16, v18
	v_fmac_f16_e32 v34, v33, v42
	v_fma_f16 v55, v3, v141, -v55
	v_fma_f16 v56, v6, v140, -v56
	v_mul_f16_e64 v58, v103, v140
	v_mul_f16_e64 v59, v104, v141
	v_mul_f16_e32 v60, v102, v40
	v_mul_f16_e32 v61, v101, v37
	v_fmamk_f16 v33, v44, 0x3482, v43
	v_lshrrev_b32_e32 v4, 16, v36
	v_mul_f16_e32 v42, 0x3abb, v53
	v_sub_f16_e32 v5, v17, v34
	v_add_f16_e32 v62, v55, v56
	v_fmac_f16_e32 v58, v6, v54
	v_fmac_f16_e32 v59, v3, v41
	v_fma_f16 v3, v2, v139, -v60
	v_fma_f16 v6, v7, v138, -v61
	v_mul_f16_e64 v41, v101, v138
	v_mul_f16_e64 v54, v102, v139
	v_add_f16_e32 v33, v4, v33
	v_fmamk_f16 v57, v5, 0xb853, v42
	v_mul_f16_e32 v60, 0xb93d, v62
	v_sub_f16_e32 v61, v58, v59
	v_add_f16_e32 v63, v3, v6
	v_fmac_f16_e32 v41, v7, v37
	v_fmac_f16_e32 v54, v2, v40
	v_add_f16_e32 v2, v57, v33
	v_fmamk_f16 v7, v61, 0x3a0c, v60
	v_mul_f16_e32 v33, 0x36a6, v63
	v_mul_f16_e32 v40, v100, v39
	v_sub_f16_e32 v37, v41, v54
	v_mul_f16_e32 v57, v99, v38
	v_add_f16_e32 v2, v7, v2
	v_mul_f16_e64 v64, v99, v136
	v_mul_f16_e64 v65, v100, v137
	v_fmamk_f16 v7, v37, 0xbb47, v33
	v_add_f16_e32 v66, v11, v10
	v_sub_f16_e32 v72, v18, v16
	v_fma_f16 v57, v0, v136, -v57
	v_fmac_f16_e32 v64, v0, v38
	v_add_f16_e32 v2, v7, v2
	v_fma_f16 v7, v1, v137, -v40
	v_sub_f16_e32 v40, v9, v8
	v_fmac_f16_e32 v65, v1, v39
	v_add_f16_e32 v1, v34, v17
	v_mul_f16_e32 v38, 0x3853, v72
	v_sub_f16_e32 v74, v56, v55
	v_mul_f16_e32 v68, 0xb482, v40
	v_add_f16_e32 v81, v59, v58
	v_add_f16_e32 v99, v54, v41
	v_fmamk_f16 v78, v1, 0x3abb, v38
	v_mul_f16_e32 v82, 0xba0c, v74
	v_fmamk_f16 v0, v66, 0xbbad, v68
	v_add_f16_e32 v104, v65, v64
	v_mul_f16_e32 v108, 0xba0c, v40
	v_mul_f16_e32 v113, 0x3beb, v72
	v_fmamk_f16 v98, v81, 0xb93d, v82
	v_add_f16_e32 v0, v36, v0
	v_mul_f16_e32 v116, 0xb853, v74
	v_mul_f16_e64 v136, 0xbbeb, v40
	v_fmamk_f16 v115, v1, 0xb08e, v113
	v_mul_f16_e64 v138, 0x3482, v72
	v_add_f16_e32 v0, v78, v0
	v_sub_f16_e32 v78, v6, v3
	v_mul_f16_e64 v141, 0x3b47, v74
	v_add_f16_e32 v10, v36, v10
	v_fma_f16 v140, 0xbbad, v1, v138
	v_add_f16_e32 v0, v98, v0
	v_mul_f16_e32 v100, 0x3b47, v78
	v_sub_f16_e32 v98, v57, v7
	v_mul_f16_e32 v118, 0xb482, v78
	v_mul_f16_e64 v143, 0xb853, v78
	v_add_f16_e32 v9, v9, v4
	v_fmamk_f16 v103, v99, 0x36a6, v100
	v_mul_f16_e32 v105, 0xbbeb, v98
	v_mul_f16_e32 v120, 0x3b47, v98
	v_add_f16_e32 v10, v17, v10
	v_add_f16_e32 v9, v18, v9
	v_add_f16_e32 v0, v103, v0
	v_fmamk_f16 v103, v104, 0xb08e, v105
	v_add_f16_e32 v70, v7, v57
	v_add_f16_e32 v10, v58, v10
	;; [unrolled: 1-line block ×3, first 2 shown]
	v_mul_f16_e32 v58, 0xbb47, v72
	v_add_f16_e32 v0, v103, v0
	v_fmamk_f16 v103, v66, 0xb93d, v108
	v_add_f16_e32 v10, v41, v10
	v_add_f16_e32 v6, v6, v9
	v_mul_f16_e32 v39, 0xb08e, v70
	v_sub_f16_e32 v77, v64, v65
	v_add_f16_e32 v103, v36, v103
	v_fmamk_f16 v56, v1, 0x36a6, v58
	v_add_f16_e32 v9, v64, v10
	v_mul_f16_e32 v10, 0xbbeb, v74
	v_add_f16_e32 v6, v57, v6
	v_add_f16_e32 v103, v115, v103
	v_fmamk_f16 v115, v81, 0x3abb, v116
	v_fmamk_f16 v85, v77, 0x3beb, v39
	v_add_f16_e32 v9, v65, v9
	v_mul_f16_e32 v57, 0xba0c, v78
	v_add_f16_e32 v6, v7, v6
	v_add_f16_e32 v103, v115, v103
	v_fmamk_f16 v115, v99, 0xbbad, v118
	v_add_f16_e32 v2, v85, v2
	v_mul_f16_e32 v85, 0xb93d, v19
	v_add_f16_e32 v7, v54, v9
	v_mul_f16_e32 v54, 0xb482, v98
	v_add_f16_e32 v103, v115, v103
	v_fmamk_f16 v115, v104, 0x36a6, v120
	v_add_f16_e32 v3, v3, v6
	v_fmamk_f16 v101, v44, 0x3a0c, v85
	v_mul_f16_e32 v102, 0xb08e, v53
	v_add_f16_e32 v6, v59, v7
	v_add_f16_e32 v103, v115, v103
	v_fma_f16 v115, 0xb08e, v66, v136
	v_add_f16_e32 v3, v55, v3
	v_add_f16_e32 v101, v4, v101
	v_fmamk_f16 v106, v5, 0xbbeb, v102
	v_mul_f16_e32 v107, 0x3abb, v62
	v_add_f16_e32 v115, v36, v115
	v_fmac_f16_e32 v43, 0xb482, v44
	v_add_f16_e32 v3, v16, v3
	v_add_f16_e32 v101, v106, v101
	v_fmamk_f16 v106, v61, 0x3853, v107
	v_add_f16_e64 v115, v140, v115
	v_fma_f16 v140, 0x36a6, v81, v141
	v_mul_f16_e32 v109, 0xbbad, v63
	v_add_f16_e32 v6, v34, v6
	v_fmac_f16_e32 v42, 0x3853, v5
	v_add_f16_e32 v3, v8, v3
	v_add_f16_e64 v115, v140, v115
	v_fma_f16 v140, 0x3abb, v99, v143
	v_add_f16_e32 v101, v106, v101
	v_fmamk_f16 v106, v37, 0x3482, v109
	v_mul_f16_e32 v114, 0x36a6, v70
	v_add_f16_e32 v6, v11, v6
	v_add_f16_e64 v115, v140, v115
	v_mul_f16_e64 v140, 0xbb47, v40
	v_mul_f16_e32 v40, 0xb853, v40
	v_fmac_f16_e32 v60, 0xba0c, v61
	v_add_f16_e32 v101, v106, v101
	v_fmamk_f16 v106, v77, 0xbb47, v114
	v_mul_f16_e32 v117, 0xb08e, v19
	v_fmamk_f16 v18, v66, 0x3abb, v40
	v_fmac_f16_e32 v33, 0x3b47, v37
	v_mul_f16_e32 v119, 0xbbad, v53
	v_add_f16_e32 v101, v106, v101
	v_fmamk_f16 v106, v44, 0x3beb, v117
	v_add_f16_e32 v18, v36, v18
	v_mul_f16_e32 v122, 0x36a6, v62
	v_fmamk_f16 v121, v5, 0xb482, v119
	v_mul_f16_e64 v137, 0x3abb, v63
	v_add_f16_e32 v106, v4, v106
	v_add_f16_e32 v18, v56, v18
	v_fmamk_f16 v56, v81, 0xb08e, v10
	v_mul_f16_e64 v157, 0xba0c, v98
	v_mul_f16_e64 v139, 0xb93d, v70
	v_add_f16_e32 v106, v121, v106
	v_fmamk_f16 v121, v61, 0xbb47, v122
	v_add_f16_e32 v9, v56, v18
	v_fmamk_f16 v18, v99, 0xb93d, v57
	v_fma_f16 v160, 0xb93d, v104, v157
	v_fma_f16 v162, 0x36a6, v66, v140
	v_add_f16_e32 v106, v121, v106
	v_fma_f16 v121, 0x3853, v37, v137
	v_add_f16_e32 v7, v18, v9
	v_fmamk_f16 v9, v104, 0xbbad, v54
	v_add_f16_e32 v18, v4, v43
	v_mul_f16_e64 v163, 0xba0c, v72
	v_add_f16_e32 v106, v121, v106
	v_fma_f16 v121, 0x3a0c, v77, v139
	v_add_f16_e32 v7, v9, v7
	v_fma_f16 v9, v66, 0xbbad, -v68
	v_add_f16_e32 v11, v42, v18
	v_fma_f16 v18, v66, 0xb93d, -v108
	v_mul_f16_e64 v142, 0x36a6, v19
	v_add_f16_e64 v115, v160, v115
	v_add_f16_e32 v8, v36, v9
	v_fma_f16 v9, v1, 0x3abb, -v38
	v_add_f16_e32 v11, v60, v11
	v_add_f16_e32 v18, v36, v18
	v_fma_f16 v38, v1, 0xbbad, -v138
	v_add_f16_e64 v160, v36, v162
	v_add_f16_e32 v8, v9, v8
	v_fma_f16 v9, v81, 0xb93d, -v82
	v_add_f16_e32 v11, v33, v11
	v_fma_f16 v33, v1, 0xb08e, -v113
	v_fma_f16 v162, 0xb93d, v1, v163
	v_mul_f16_e64 v164, 0x3482, v74
	v_add_f16_e32 v8, v9, v8
	v_fma_f16 v9, v99, 0x36a6, -v100
	v_mul_f16_e32 v19, 0x3abb, v19
	v_add_f16_e32 v106, v121, v106
	v_fma_f16 v121, 0x3b47, v44, v142
	v_add_f16_e64 v160, v162, v160
	v_add_f16_e32 v8, v9, v8
	v_fma_f16 v9, v104, 0xb08e, -v105
	v_fma_f16 v162, 0xbbad, v81, v164
	v_fma_f16 v165, 0x3853, v44, v19
	v_fmac_f16_e32 v85, 0xba0c, v44
	v_fmac_f16_e32 v117, 0xbbeb, v44
	v_add_f16_e32 v8, v9, v8
	v_add_f16_e32 v9, v33, v18
	v_fma_f16 v18, v81, 0x3abb, -v116
	v_fma_f16 v33, v66, 0xb08e, -v136
	v_fmac_f16_e64 v142, 0xbb47, v44
	v_fmac_f16_e32 v19, 0xb853, v44
	v_fma_f16 v40, v66, 0x3abb, -v40
	v_add_f16_e32 v9, v18, v9
	v_fma_f16 v18, v99, 0xbbad, -v118
	v_add_f16_e32 v33, v36, v33
	v_add_f16_e32 v121, v4, v121
	v_add_f16_e64 v160, v162, v160
	v_add_f16_e64 v162, v4, v165
	v_add_f16_e32 v9, v18, v9
	v_fma_f16 v18, v104, 0x36a6, -v120
	v_add_f16_e32 v33, v38, v33
	v_fma_f16 v38, v81, 0x36a6, -v141
	v_add_f16_e32 v16, v4, v85
	v_add_f16_e32 v34, v4, v117
	;; [unrolled: 1-line block ×3, first 2 shown]
	v_mul_f16_e64 v144, 0xb93d, v53
	v_add_f16_e32 v18, v38, v33
	v_fma_f16 v33, v99, 0x3abb, -v143
	v_add_f16_e64 v38, v4, v142
	v_add_f16_e32 v4, v4, v19
	v_add_f16_e32 v19, v36, v40
	v_fma_f16 v158, 0x3a0c, v5, v144
	v_add_f16_e32 v18, v33, v18
	v_fma_f16 v33, v66, 0x36a6, -v140
	v_mul_f16_e64 v159, 0xbbad, v62
	v_mul_f16_e64 v161, 0xb08e, v63
	v_add_f16_e64 v121, v158, v121
	v_mul_f16_e32 v53, 0x36a6, v53
	v_add_f16_e32 v33, v36, v33
	scratch_load_b32 v36, off, off th:TH_LOAD_LU ; 4-byte Folded Reload
	v_fma_f16 v158, 0xb482, v61, v159
	v_mul_f16_e32 v62, 0xb08e, v62
	v_fma_f16 v165, 0x3b47, v5, v53
	v_fmac_f16_e32 v39, 0xbbeb, v77
	v_mul_f16_e32 v63, 0xb93d, v63
	v_add_f16_e64 v121, v158, v121
	v_fma_f16 v158, 0xbbeb, v37, v161
	v_add_f16_e64 v162, v165, v162
	v_fma_f16 v165, 0x3beb, v61, v62
	v_fmac_f16_e32 v102, 0x3beb, v5
	v_add_f16_e32 v11, v39, v11
	v_add_f16_e64 v121, v158, v121
	v_mul_f16_e64 v158, 0x3abb, v70
	v_fmac_f16_e32 v119, 0x3482, v5
	v_fmac_f16_e64 v144, 0xba0c, v5
	v_fma_f16 v39, v104, 0xb93d, -v157
	v_fma_f16 v42, v1, 0xb93d, -v163
	v_fmac_f16_e32 v53, 0xbb47, v5
	v_fma_f16 v1, v1, 0x36a6, -v58
	v_fma_f16 v166, 0xb853, v77, v158
	v_mul_f16_e64 v167, 0x3beb, v78
	v_add_f16_e64 v162, v165, v162
	v_fmamk_f16 v17, v37, 0x3a0c, v63
	v_mul_f16_e32 v41, 0xbbad, v70
	v_add_f16_e32 v16, v102, v16
	v_fmac_f16_e32 v107, 0xb853, v61
	v_add_f16_e32 v34, v119, v34
	v_fmac_f16_e32 v122, 0x3b47, v61
	v_add_f16_e64 v38, v144, v38
	v_fmac_f16_e64 v159, 0x3482, v61
	v_add_f16_e32 v18, v39, v18
	v_add_f16_e32 v33, v42, v33
	v_fma_f16 v39, v81, 0xbbad, -v164
	v_add_f16_e32 v4, v53, v4
	v_fmac_f16_e32 v62, 0xbbeb, v61
	v_add_f16_e32 v1, v1, v19
	v_fma_f16 v10, v81, 0xb08e, -v10
	v_fma_f16 v168, 0xb08e, v99, v167
	v_add_f16_e64 v121, v166, v121
	v_mul_f16_e64 v166, 0x3853, v98
	v_add_f16_e64 v17, v17, v162
	v_fmamk_f16 v64, v77, 0x3482, v41
	v_mul_u32_u24_e32 v19, 22, v110
	v_add_f16_e32 v16, v107, v16
	v_fmac_f16_e32 v109, 0xb482, v37
	v_add_f16_e32 v34, v122, v34
	v_fmac_f16_e64 v137, 0xb853, v37
	v_add_f16_e64 v38, v159, v38
	v_fmac_f16_e64 v161, 0x3beb, v37
	v_add_f16_e32 v5, v39, v33
	v_fma_f16 v33, v99, 0xb08e, -v167
	v_add_f16_e32 v4, v62, v4
	v_fmac_f16_e32 v63, 0xba0c, v37
	v_add_f16_e32 v1, v10, v1
	v_fma_f16 v10, v99, 0xb93d, -v57
	v_add_f16_e64 v160, v168, v160
	v_fma_f16 v168, 0x3abb, v104, v166
	v_add_f16_e32 v17, v64, v17
	v_add_f16_e32 v16, v109, v16
	v_fmac_f16_e32 v114, 0x3b47, v77
	v_add_f16_e64 v34, v137, v34
	v_fmac_f16_e64 v139, 0xba0c, v77
	v_add_f16_e64 v38, v161, v38
	v_fmac_f16_e64 v158, 0x3853, v77
	v_add_f16_e32 v5, v33, v5
	v_fma_f16 v33, v104, 0x3abb, -v166
	v_add_f16_e32 v4, v63, v4
	v_fmac_f16_e32 v41, 0xb482, v77
	v_add_f16_e32 v1, v10, v1
	v_fma_f16 v10, v104, 0xbbad, -v54
	v_add_f16_e64 v160, v168, v160
	v_pack_b32_f16 v3, v6, v3
	v_pack_b32_f16 v6, v7, v17
	v_add_f16_e32 v16, v114, v16
	v_add_f16_e64 v34, v139, v34
	v_add_f16_e64 v7, v158, v38
	v_add_f16_e32 v5, v33, v5
	v_add_f16_e32 v4, v41, v4
	;; [unrolled: 1-line block ×3, first 2 shown]
	v_pack_b32_f16 v10, v103, v101
	v_pack_b32_f16 v0, v0, v2
	v_pack_b32_f16 v2, v8, v11
	v_pack_b32_f16 v8, v9, v16
	v_pack_b32_f16 v9, v18, v34
	v_pack_b32_f16 v5, v5, v7
	v_pack_b32_f16 v1, v1, v4
	s_wait_loadcnt 0x0
	v_or_b32_e32 v19, v19, v36
	s_delay_alu instid0(VALU_DEP_1)
	v_lshl_add_u32 v19, v19, 2, v97
	ds_store_2addr_b32 v19, v3, v6 offset1:2
	v_pack_b32_f16 v3, v160, v121
	v_pack_b32_f16 v6, v115, v106
	ds_store_2addr_b32 v19, v3, v6 offset0:4 offset1:6
	ds_store_2addr_b32 v19, v10, v0 offset0:8 offset1:10
	;; [unrolled: 1-line block ×4, first 2 shown]
	ds_store_b32 v19, v1 offset:80
.LBB0_9:
	s_wait_alu 0xfffe
	s_or_b32 exec_lo, exec_lo, s0
	v_add_nc_u32_e32 v3, 0x400, v89
	global_wb scope:SCOPE_SE
	s_wait_dscnt 0x0
	s_barrier_signal -1
	s_barrier_wait -1
	global_inv scope:SCOPE_SE
	ds_load_2addr_b32 v[5:6], v89 offset1:77
	ds_load_2addr_b32 v[7:8], v89 offset0:154 offset1:231
	v_add_nc_u32_e32 v0, 0x600, v89
	v_add_nc_u32_e32 v4, 0x800, v89
	;; [unrolled: 1-line block ×3, first 2 shown]
	ds_load_2addr_b32 v[9:10], v3 offset0:52 offset1:129
	ds_load_2addr_b32 v[16:17], v0 offset0:78 offset1:155
	;; [unrolled: 1-line block ×5, first 2 shown]
	global_wb scope:SCOPE_SE
	s_wait_dscnt 0x0
	s_barrier_signal -1
	s_barrier_wait -1
	global_inv scope:SCOPE_SE
	s_mov_b32 s8, 0xdbe74d6b
	s_mov_b32 s9, 0x3f4e65a3
	v_lshrrev_b32_e32 v1, 16, v5
	v_lshrrev_b32_e32 v11, 16, v7
	;; [unrolled: 1-line block ×3, first 2 shown]
	v_mul_f16_e64 v40, v135, v7
	v_lshrrev_b32_e32 v42, 16, v16
	v_lshrrev_b32_e32 v43, 16, v18
	;; [unrolled: 1-line block ×3, first 2 shown]
	v_mul_f16_e64 v58, v135, v11
	v_mul_f16_e64 v59, v134, v41
	;; [unrolled: 1-line block ×3, first 2 shown]
	v_lshrrev_b32_e32 v39, 16, v8
	v_lshrrev_b32_e32 v53, 16, v36
	v_fma_f16 v11, v20, v11, -v40
	v_fmac_f16_e32 v58, v20, v7
	v_fmac_f16_e32 v59, v21, v9
	v_fma_f16 v7, v21, v41, -v60
	v_mul_f16_e64 v9, v133, v42
	v_mul_f16_e64 v20, v133, v16
	;; [unrolled: 1-line block ×5, first 2 shown]
	v_lshrrev_b32_e32 v54, 16, v10
	v_lshrrev_b32_e32 v55, 16, v17
	;; [unrolled: 1-line block ×3, first 2 shown]
	v_fmac_f16_e32 v9, v22, v16
	v_fma_f16 v16, v22, v42, -v20
	v_fmac_f16_e32 v21, v23, v18
	v_fma_f16 v18, v23, v43, -v40
	v_fmac_f16_e32 v41, v47, v33
	v_mul_f16_e64 v20, v131, v33
	v_mul_f16_e64 v22, v130, v53
	;; [unrolled: 1-line block ×4, first 2 shown]
	v_lshrrev_b32_e32 v57, 16, v34
	v_lshrrev_b32_e32 v61, 16, v37
	v_mul_f16_e64 v23, v130, v36
	v_fmac_f16_e32 v22, v48, v36
	v_fmac_f16_e32 v33, v12, v8
	v_fma_f16 v8, v12, v39, -v40
	v_mul_f16_e64 v12, v128, v54
	v_mul_f16_e64 v36, v128, v10
	v_mul_f16_e32 v39, v127, v55
	v_mul_f16_e32 v40, v127, v17
	;; [unrolled: 1-line block ×3, first 2 shown]
	v_fma_f16 v20, v47, v44, -v20
	v_fma_f16 v23, v48, v53, -v23
	v_fmac_f16_e32 v12, v13, v10
	v_fma_f16 v10, v13, v54, -v36
	v_fmac_f16_e32 v39, v14, v17
	;; [unrolled: 2-line block ×3, first 2 shown]
	v_mul_f16_e32 v14, v126, v19
	v_mul_f16_e32 v17, v125, v57
	;; [unrolled: 1-line block ×5, first 2 shown]
	v_fma_f16 v14, v15, v56, -v14
	v_fmac_f16_e32 v17, v45, v34
	v_fma_f16 v15, v45, v57, -v19
	v_fmac_f16_e32 v36, v46, v37
	v_fma_f16 v19, v46, v61, -v40
	v_add_f16_e32 v34, v58, v22
	v_add_f16_e32 v37, v11, v23
	v_sub_f16_e32 v11, v11, v23
	v_add_f16_e32 v23, v59, v41
	v_add_f16_e32 v40, v7, v20
	v_sub_f16_e32 v22, v58, v22
	v_sub_f16_e32 v41, v59, v41
	;; [unrolled: 1-line block ×3, first 2 shown]
	v_add_f16_e32 v20, v9, v21
	v_add_f16_e32 v43, v16, v18
	v_sub_f16_e32 v9, v21, v9
	v_sub_f16_e32 v16, v18, v16
	v_add_f16_e32 v18, v23, v34
	v_add_f16_e32 v21, v40, v37
	v_sub_f16_e32 v44, v23, v34
	v_sub_f16_e32 v45, v40, v37
	;; [unrolled: 1-line block ×6, first 2 shown]
	v_add_f16_e32 v46, v9, v41
	v_add_f16_e32 v47, v16, v7
	v_sub_f16_e32 v48, v9, v41
	v_sub_f16_e32 v53, v16, v7
	v_sub_f16_e32 v41, v41, v22
	v_add_f16_e32 v18, v20, v18
	v_add_f16_e32 v20, v43, v21
	v_sub_f16_e32 v7, v7, v11
	v_sub_f16_e32 v9, v22, v9
	v_sub_f16_e32 v16, v11, v16
	v_add_f16_e32 v21, v46, v22
	v_add_f16_e32 v11, v47, v11
	;; [unrolled: 1-line block ×4, first 2 shown]
	v_mul_f16_e32 v22, 0x3a52, v34
	v_mul_f16_e32 v34, 0x3a52, v37
	;; [unrolled: 1-line block ×8, first 2 shown]
	v_fmamk_f16 v18, v18, 0xbcab, v5
	v_fmamk_f16 v20, v20, 0xbcab, v1
	;; [unrolled: 1-line block ×4, first 2 shown]
	v_fma_f16 v37, v44, 0x39e0, -v37
	v_fma_f16 v43, v45, 0x39e0, -v43
	;; [unrolled: 1-line block ×4, first 2 shown]
	v_fmamk_f16 v44, v9, 0xb574, v46
	v_fmamk_f16 v45, v16, 0xb574, v47
	v_fma_f16 v9, v9, 0x3574, -v48
	v_fma_f16 v16, v16, 0x3574, -v53
	;; [unrolled: 1-line block ×4, first 2 shown]
	v_add_f16_e32 v23, v23, v18
	v_add_f16_e32 v40, v40, v20
	;; [unrolled: 1-line block ×6, first 2 shown]
	v_fmac_f16_e32 v44, 0xb70e, v21
	v_fmac_f16_e32 v45, 0xb70e, v11
	;; [unrolled: 1-line block ×6, first 2 shown]
	v_add_f16_e32 v11, v45, v23
	v_sub_f16_e32 v21, v40, v44
	v_add_f16_e32 v22, v16, v18
	v_sub_f16_e32 v34, v20, v9
	v_sub_f16_e32 v16, v18, v16
	v_add_f16_e32 v9, v9, v20
	v_sub_f16_e32 v18, v23, v45
	v_add_f16_e32 v20, v44, v40
	v_add_f16_e32 v23, v33, v36
	;; [unrolled: 1-line block ×3, first 2 shown]
	v_sub_f16_e32 v33, v33, v36
	v_sub_f16_e32 v8, v8, v19
	v_add_f16_e32 v19, v12, v17
	v_add_f16_e32 v36, v10, v15
	v_sub_f16_e32 v46, v37, v7
	v_add_f16_e32 v47, v41, v43
	v_add_f16_e32 v7, v7, v37
	v_sub_f16_e32 v37, v43, v41
	v_sub_f16_e32 v12, v12, v17
	;; [unrolled: 1-line block ×3, first 2 shown]
	v_add_f16_e32 v15, v39, v42
	v_add_f16_e32 v17, v13, v14
	v_sub_f16_e32 v39, v42, v39
	v_sub_f16_e32 v13, v14, v13
	v_add_f16_e32 v14, v19, v23
	v_add_f16_e32 v41, v36, v40
	v_lshrrev_b32_e32 v38, 16, v6
	v_sub_f16_e32 v42, v19, v23
	v_sub_f16_e32 v43, v36, v40
	;; [unrolled: 1-line block ×6, first 2 shown]
	v_add_f16_e32 v44, v39, v12
	v_add_f16_e32 v45, v13, v10
	v_sub_f16_e32 v48, v39, v12
	v_sub_f16_e32 v53, v13, v10
	v_add_f16_e32 v14, v15, v14
	v_add_f16_e32 v15, v17, v41
	v_sub_f16_e32 v12, v12, v33
	v_sub_f16_e32 v10, v10, v8
	;; [unrolled: 1-line block ×4, first 2 shown]
	v_add_f16_e32 v17, v44, v33
	v_add_f16_e32 v8, v45, v8
	;; [unrolled: 1-line block ×4, first 2 shown]
	v_mul_f16_e32 v23, 0x3a52, v23
	v_mul_f16_e32 v38, 0x3a52, v40
	;; [unrolled: 1-line block ×8, first 2 shown]
	v_fmamk_f16 v14, v14, 0xbcab, v6
	v_fmamk_f16 v15, v15, 0xbcab, v33
	;; [unrolled: 1-line block ×4, first 2 shown]
	v_fma_f16 v40, v42, 0x39e0, -v40
	v_fma_f16 v41, v43, 0x39e0, -v41
	;; [unrolled: 1-line block ×4, first 2 shown]
	v_fmamk_f16 v42, v39, 0xb574, v44
	v_fmamk_f16 v43, v13, 0xb574, v45
	v_fma_f16 v12, v12, 0xbb00, -v44
	v_fma_f16 v10, v10, 0xbb00, -v45
	;; [unrolled: 1-line block ×4, first 2 shown]
	v_add_f16_e32 v19, v19, v14
	v_add_f16_e32 v36, v36, v15
	v_fmac_f16_e32 v42, 0xb70e, v17
	v_fmac_f16_e32 v43, 0xb70e, v8
	v_add_f16_e32 v40, v40, v14
	v_add_f16_e32 v41, v41, v15
	v_add_f16_e32 v14, v23, v14
	v_add_f16_e32 v15, v38, v15
	v_fmac_f16_e32 v12, 0xb70e, v17
	v_fmac_f16_e32 v13, 0xb70e, v8
	;; [unrolled: 1-line block ×4, first 2 shown]
	v_pack_b32_f16 v1, v5, v1
	v_pack_b32_f16 v5, v11, v21
	v_add_f16_e32 v8, v43, v19
	v_sub_f16_e32 v17, v36, v42
	v_pack_b32_f16 v11, v22, v34
	v_pack_b32_f16 v21, v46, v47
	v_add_f16_e32 v23, v13, v14
	v_sub_f16_e32 v38, v15, v39
	v_sub_f16_e32 v44, v40, v10
	v_add_f16_e32 v45, v12, v41
	v_pack_b32_f16 v7, v7, v37
	v_pack_b32_f16 v9, v16, v9
	v_add_f16_e32 v10, v10, v40
	v_sub_f16_e32 v12, v41, v12
	v_sub_f16_e32 v13, v14, v13
	v_add_f16_e32 v14, v39, v15
	v_sub_f16_e32 v15, v19, v43
	v_add_f16_e32 v19, v42, v36
	ds_store_2addr_b32 v112, v1, v5 offset1:22
	ds_store_2addr_b32 v112, v11, v21 offset0:44 offset1:66
	ds_store_2addr_b32 v112, v7, v9 offset0:88 offset1:110
	v_pack_b32_f16 v1, v18, v20
	v_pack_b32_f16 v5, v6, v33
	;; [unrolled: 1-line block ×8, first 2 shown]
	ds_store_b32 v112, v1 offset:528
	ds_store_2addr_b32 v111, v5, v6 offset1:22
	ds_store_2addr_b32 v111, v7, v8 offset0:44 offset1:66
	ds_store_2addr_b32 v111, v9, v10 offset0:88 offset1:110
	ds_store_b32 v111, v11 offset:528
	global_wb scope:SCOPE_SE
	s_wait_dscnt 0x0
	s_barrier_signal -1
	s_barrier_wait -1
	global_inv scope:SCOPE_SE
	ds_load_2addr_b32 v[5:6], v89 offset1:77
	ds_load_2addr_b32 v[7:8], v89 offset0:154 offset1:231
	ds_load_2addr_b32 v[9:10], v3 offset0:52 offset1:129
	;; [unrolled: 1-line block ×6, first 2 shown]
	s_wait_dscnt 0x6
	v_lshrrev_b32_e32 v1, 16, v5
	s_wait_dscnt 0x5
	v_lshrrev_b32_e32 v19, 16, v7
	;; [unrolled: 2-line block ×6, first 2 shown]
	v_mul_f16_e64 v41, v156, v19
	v_mul_f16_e64 v42, v156, v7
	;; [unrolled: 1-line block ×4, first 2 shown]
	s_wait_dscnt 0x0
	v_lshrrev_b32_e32 v33, 16, v17
	v_lshrrev_b32_e32 v36, 16, v8
	v_fmac_f16_e32 v41, v28, v7
	v_fma_f16 v7, v28, v19, -v42
	v_fmac_f16_e32 v43, v29, v9
	v_fma_f16 v9, v29, v20, -v44
	v_mul_f16_e64 v19, v154, v21
	v_mul_f16_e64 v20, v154, v11
	;; [unrolled: 1-line block ×5, first 2 shown]
	v_lshrrev_b32_e32 v37, 16, v10
	v_lshrrev_b32_e32 v38, 16, v12
	;; [unrolled: 1-line block ×3, first 2 shown]
	v_fmac_f16_e32 v19, v30, v11
	v_fma_f16 v11, v30, v21, -v20
	v_fmac_f16_e32 v28, v31, v13
	v_fma_f16 v13, v31, v22, -v29
	v_fmac_f16_e32 v42, v49, v15
	v_mul_f16_e64 v15, v152, v15
	v_mul_f16_e64 v20, v151, v33
	;; [unrolled: 1-line block ×5, first 2 shown]
	v_lshrrev_b32_e32 v40, 16, v16
	v_lshrrev_b32_e32 v45, 16, v18
	v_fma_f16 v15, v49, v23, -v15
	v_fmac_f16_e32 v20, v50, v17
	v_fma_f16 v17, v50, v33, -v21
	v_fmac_f16_e32 v22, v24, v8
	v_fma_f16 v8, v24, v36, -v29
	v_mul_f16_e64 v21, v149, v37
	v_mul_f16_e64 v23, v149, v10
	;; [unrolled: 1-line block ×5, first 2 shown]
	v_fmac_f16_e32 v21, v25, v10
	v_fma_f16 v10, v25, v37, -v23
	v_fmac_f16_e32 v24, v26, v12
	v_fma_f16 v12, v26, v38, -v29
	v_fmac_f16_e32 v30, v27, v14
	v_mul_f16_e64 v14, v147, v14
	v_mul_f16_e64 v23, v146, v40
	;; [unrolled: 1-line block ×5, first 2 shown]
	v_fma_f16 v14, v27, v39, -v14
	v_fmac_f16_e32 v23, v51, v16
	v_fma_f16 v16, v51, v40, -v25
	v_fmac_f16_e32 v26, v52, v18
	v_fma_f16 v18, v52, v45, -v29
	v_add_f16_e32 v25, v41, v20
	v_add_f16_e32 v27, v7, v17
	v_sub_f16_e32 v7, v7, v17
	v_add_f16_e32 v17, v43, v42
	v_add_f16_e32 v29, v9, v15
	v_sub_f16_e32 v20, v41, v20
	v_sub_f16_e32 v31, v43, v42
	;; [unrolled: 1-line block ×3, first 2 shown]
	v_add_f16_e32 v15, v19, v28
	v_add_f16_e32 v33, v11, v13
	v_sub_f16_e32 v19, v28, v19
	v_sub_f16_e32 v11, v13, v11
	v_add_f16_e32 v13, v17, v25
	v_add_f16_e32 v28, v29, v27
	v_sub_f16_e32 v36, v17, v25
	v_sub_f16_e32 v37, v29, v27
	;; [unrolled: 1-line block ×6, first 2 shown]
	v_add_f16_e32 v38, v19, v31
	v_add_f16_e32 v39, v11, v9
	v_sub_f16_e32 v40, v19, v31
	v_sub_f16_e32 v41, v11, v9
	;; [unrolled: 1-line block ×3, first 2 shown]
	v_add_f16_e32 v13, v15, v13
	v_add_f16_e32 v15, v33, v28
	v_sub_f16_e32 v9, v9, v7
	v_sub_f16_e32 v19, v20, v19
	;; [unrolled: 1-line block ×3, first 2 shown]
	v_add_f16_e32 v20, v38, v20
	v_add_f16_e32 v7, v39, v7
	;; [unrolled: 1-line block ×4, first 2 shown]
	v_mul_f16_e32 v25, 0x3a52, v25
	v_mul_f16_e32 v27, 0x3a52, v27
	;; [unrolled: 1-line block ×8, first 2 shown]
	v_fmamk_f16 v13, v13, 0xbcab, v5
	v_fmamk_f16 v15, v15, 0xbcab, v1
	;; [unrolled: 1-line block ×4, first 2 shown]
	v_fma_f16 v28, v36, 0x39e0, -v28
	v_fma_f16 v33, v37, 0x39e0, -v33
	;; [unrolled: 1-line block ×4, first 2 shown]
	v_fmamk_f16 v36, v19, 0xb574, v38
	v_fmamk_f16 v37, v11, 0xb574, v39
	v_fma_f16 v19, v19, 0x3574, -v40
	v_fma_f16 v11, v11, 0x3574, -v41
	;; [unrolled: 1-line block ×4, first 2 shown]
	v_add_f16_e32 v17, v17, v13
	v_add_f16_e32 v29, v29, v15
	;; [unrolled: 1-line block ×6, first 2 shown]
	v_fmac_f16_e32 v36, 0xb70e, v20
	v_fmac_f16_e32 v37, 0xb70e, v7
	;; [unrolled: 1-line block ×6, first 2 shown]
	v_add_f16_e32 v7, v37, v17
	v_sub_f16_e32 v20, v29, v36
	v_add_f16_e32 v25, v11, v13
	v_sub_f16_e32 v27, v15, v19
	v_sub_f16_e32 v11, v13, v11
	v_add_f16_e32 v13, v19, v15
	v_sub_f16_e32 v15, v17, v37
	v_add_f16_e32 v17, v36, v29
	v_add_f16_e32 v19, v22, v26
	;; [unrolled: 1-line block ×3, first 2 shown]
	v_sub_f16_e32 v22, v22, v26
	v_sub_f16_e32 v8, v8, v18
	v_add_f16_e32 v18, v21, v23
	v_add_f16_e32 v26, v10, v16
	v_sub_f16_e32 v21, v21, v23
	v_sub_f16_e32 v10, v10, v16
	v_add_f16_e32 v16, v24, v30
	v_add_f16_e32 v23, v12, v14
	;; [unrolled: 4-line block ×3, first 2 shown]
	v_lshrrev_b32_e32 v34, 16, v6
	v_sub_f16_e32 v38, v28, v9
	v_add_f16_e32 v39, v31, v33
	v_add_f16_e32 v9, v9, v28
	v_sub_f16_e32 v28, v33, v31
	v_sub_f16_e32 v31, v18, v19
	;; [unrolled: 1-line block ×7, first 2 shown]
	v_add_f16_e32 v36, v24, v21
	v_add_f16_e32 v37, v12, v10
	v_sub_f16_e32 v40, v24, v21
	v_sub_f16_e32 v41, v12, v10
	;; [unrolled: 1-line block ×3, first 2 shown]
	v_add_f16_e32 v14, v16, v14
	v_add_f16_e32 v16, v23, v30
	v_sub_f16_e32 v10, v10, v8
	v_sub_f16_e32 v24, v22, v24
	;; [unrolled: 1-line block ×3, first 2 shown]
	v_add_f16_e32 v22, v36, v22
	v_add_f16_e32 v8, v37, v8
	;; [unrolled: 1-line block ×4, first 2 shown]
	v_mul_f16_e32 v19, 0x3a52, v19
	v_mul_f16_e32 v29, 0x3a52, v29
	;; [unrolled: 1-line block ×8, first 2 shown]
	v_fmamk_f16 v14, v14, 0xbcab, v6
	v_fmamk_f16 v16, v16, 0xbcab, v23
	;; [unrolled: 1-line block ×4, first 2 shown]
	v_fma_f16 v30, v31, 0x39e0, -v30
	v_fma_f16 v34, v33, 0x39e0, -v34
	;; [unrolled: 1-line block ×4, first 2 shown]
	v_fmamk_f16 v31, v24, 0xb574, v36
	v_fmamk_f16 v33, v12, 0xb574, v37
	v_fma_f16 v24, v24, 0x3574, -v40
	v_fma_f16 v12, v12, 0x3574, -v41
	v_fma_f16 v21, v21, 0xbb00, -v36
	v_fma_f16 v10, v10, 0xbb00, -v37
	v_add_f16_e32 v18, v18, v14
	v_add_f16_e32 v26, v26, v16
	;; [unrolled: 1-line block ×6, first 2 shown]
	v_fmac_f16_e32 v33, 0xb70e, v8
	v_fmac_f16_e32 v12, 0xb70e, v8
	;; [unrolled: 1-line block ×6, first 2 shown]
	v_add_f16_e32 v8, v33, v18
	v_add_f16_e32 v22, v12, v14
	v_sub_f16_e32 v29, v16, v24
	v_sub_f16_e32 v12, v14, v12
	v_add_f16_e32 v14, v24, v16
	v_sub_f16_e32 v16, v18, v33
	v_pack_b32_f16 v1, v5, v1
	v_pack_b32_f16 v5, v7, v20
	;; [unrolled: 1-line block ×3, first 2 shown]
	v_add_nc_u32_e32 v18, 0x200, v89
	v_sub_f16_e32 v19, v26, v31
	v_pack_b32_f16 v20, v38, v39
	v_sub_f16_e32 v36, v30, v10
	v_add_f16_e32 v37, v21, v34
	v_add_f16_e32 v10, v10, v30
	v_sub_f16_e32 v21, v34, v21
	v_pack_b32_f16 v9, v9, v28
	v_pack_b32_f16 v11, v11, v13
	v_add_nc_u32_e32 v13, 0x900, v123
	v_add_f16_e32 v24, v31, v26
	ds_store_2addr_b32 v18, v5, v7 offset0:26 offset1:180
	ds_store_b32 v89, v1
	ds_store_b32 v89, v20 offset:1848
	ds_store_2addr_b32 v13, v9, v11 offset0:40 offset1:194
	v_pack_b32_f16 v1, v15, v17
	v_pack_b32_f16 v5, v6, v23
	v_pack_b32_f16 v6, v8, v19
	v_pack_b32_f16 v7, v22, v29
	v_add_nc_u32_e32 v8, 0x200, v35
	v_pack_b32_f16 v9, v36, v37
	v_pack_b32_f16 v10, v10, v21
	v_add_nc_u32_e32 v11, 0x600, v35
	v_pack_b32_f16 v12, v12, v14
	v_pack_b32_f16 v13, v16, v24
	v_add_nc_u32_e32 v14, 0xc00, v35
	ds_store_b32 v123, v1 offset:3696
	ds_store_b32 v89, v5 offset:308
	ds_store_2addr_b32 v8, v6, v7 offset0:26 offset1:180
	ds_store_2addr_b32 v11, v9, v10 offset0:78 offset1:232
	;; [unrolled: 1-line block ×3, first 2 shown]
	global_wb scope:SCOPE_SE
	s_wait_dscnt 0x0
	s_barrier_signal -1
	s_barrier_wait -1
	global_inv scope:SCOPE_SE
	ds_load_2addr_b32 v[5:6], v89 offset1:77
	v_lshrrev_b32_e32 v29, 16, v76
	s_wait_dscnt 0x0
	v_lshrrev_b32_e32 v1, 16, v5
	s_delay_alu instid0(VALU_DEP_1) | instskip(NEXT) | instid1(VALU_DEP_1)
	v_mul_f16_e32 v7, v96, v1
	v_fmac_f16_e32 v7, v93, v5
	v_mul_f16_e32 v5, v96, v5
	s_delay_alu instid0(VALU_DEP_2) | instskip(NEXT) | instid1(VALU_DEP_2)
	v_cvt_f32_f16_e32 v7, v7
	v_fma_f16 v1, v93, v1, -v5
	s_delay_alu instid0(VALU_DEP_2) | instskip(NEXT) | instid1(VALU_DEP_2)
	v_cvt_f64_f32_e32 v[7:8], v7
	v_cvt_f32_f16_e32 v1, v1
	s_delay_alu instid0(VALU_DEP_1) | instskip(SKIP_3) | instid1(VALU_DEP_1)
	v_cvt_f64_f32_e32 v[9:10], v1
	ds_load_2addr_b32 v[0:1], v0 offset0:78 offset1:155
	s_wait_dscnt 0x0
	v_lshrrev_b32_e32 v5, 16, v1
	v_mul_f16_e32 v11, v95, v5
	s_delay_alu instid0(VALU_DEP_1) | instskip(SKIP_3) | instid1(VALU_DEP_3)
	v_fmac_f16_e32 v11, v94, v1
	s_wait_alu 0xfffe
	v_mul_f64_e32 v[7:8], s[8:9], v[7:8]
	v_mul_f16_e32 v1, v95, v1
	v_cvt_f32_f16_e32 v11, v11
	v_mul_f64_e32 v[9:10], s[8:9], v[9:10]
	s_delay_alu instid0(VALU_DEP_3) | instskip(NEXT) | instid1(VALU_DEP_1)
	v_fma_f16 v1, v94, v5, -v1
	v_cvt_f32_f16_e32 v1, v1
	v_and_or_b32 v7, 0x1ff, v8, v7
	v_lshrrev_b32_e32 v12, 8, v8
	v_bfe_u32 v13, v8, 20, 11
	s_delay_alu instid0(VALU_DEP_3) | instskip(SKIP_1) | instid1(VALU_DEP_3)
	v_cmp_ne_u32_e32 vcc_lo, 0, v7
	v_and_or_b32 v9, 0x1ff, v10, v9
	v_sub_nc_u32_e32 v14, 0x3f1, v13
	v_lshrrev_b32_e32 v17, 8, v10
	v_bfe_u32 v18, v10, 20, 11
	s_wait_alu 0xfffd
	v_cndmask_b32_e64 v7, 0, 1, vcc_lo
	v_cmp_ne_u32_e32 vcc_lo, 0, v9
	v_med3_i32 v14, v14, 0, 13
	v_add_nc_u32_e32 v19, 0xfffffc10, v13
	v_sub_nc_u32_e32 v13, 0x3f1, v18
	v_and_or_b32 v7, 0xffe, v12, v7
	v_cvt_f64_f32_e32 v[11:12], v11
	s_wait_alu 0xfffd
	v_cndmask_b32_e64 v9, 0, 1, vcc_lo
	v_lshrrev_b32_e32 v10, 16, v10
	v_med3_i32 v20, v13, 0, 13
	v_or_b32_e32 v15, 0x1000, v7
	s_delay_alu instid0(VALU_DEP_4) | instskip(NEXT) | instid1(VALU_DEP_2)
	v_and_or_b32 v9, 0xffe, v17, v9
	v_lshrrev_b32_e32 v16, v14, v15
	s_delay_alu instid0(VALU_DEP_2) | instskip(NEXT) | instid1(VALU_DEP_2)
	v_or_b32_e32 v17, 0x1000, v9
	v_lshlrev_b32_e32 v14, v14, v16
	s_delay_alu instid0(VALU_DEP_2) | instskip(NEXT) | instid1(VALU_DEP_2)
	v_lshrrev_b32_e32 v21, v20, v17
	v_cmp_ne_u32_e32 vcc_lo, v14, v15
	s_delay_alu instid0(VALU_DEP_2) | instskip(SKIP_3) | instid1(VALU_DEP_3)
	v_lshlrev_b32_e32 v20, v20, v21
	s_wait_alu 0xfffd
	v_cndmask_b32_e64 v14, 0, 1, vcc_lo
	v_cmp_gt_i32_e32 vcc_lo, 1, v19
	v_cmp_ne_u32_e64 s1, v20, v17
	v_add_nc_u32_e32 v20, 0xfffffc10, v18
	s_delay_alu instid0(VALU_DEP_4) | instskip(SKIP_3) | instid1(VALU_DEP_2)
	v_or_b32_e32 v5, v16, v14
	v_lshl_or_b32 v14, v19, 12, v7
	v_cvt_f64_f32_e32 v[15:16], v1
	s_wait_alu 0xfffd
	v_cndmask_b32_e32 v5, v14, v5, vcc_lo
	v_mad_co_u64_u32 v[13:14], null, s6, v32, 0
	v_mul_f64_e32 v[11:12], s[8:9], v[11:12]
	s_delay_alu instid0(VALU_DEP_2) | instskip(NEXT) | instid1(VALU_DEP_1)
	v_dual_mov_b32 v1, v14 :: v_dual_and_b32 v22, 7, v5
	v_cmp_lt_i32_e32 vcc_lo, 5, v22
	v_cmp_eq_u32_e64 s0, 3, v22
	s_wait_alu 0xf1ff
	v_cndmask_b32_e64 v14, 0, 1, s1
	v_mad_co_u64_u32 v[17:18], null, s7, v32, v[1:2]
	v_lshrrev_b32_e32 v1, 2, v5
	s_or_b32 vcc_lo, s0, vcc_lo
	s_delay_alu instid0(VALU_DEP_3)
	v_or_b32_e32 v5, v21, v14
	v_lshl_or_b32 v14, v20, 12, v9
	v_lshrrev_b32_e32 v21, 16, v8
	s_wait_alu 0xfffe
	v_add_co_ci_u32_e32 v1, vcc_lo, 0, v1, vcc_lo
	v_cmp_ne_u32_e32 vcc_lo, 0, v7
	s_movk_i32 s6, 0xf8c8
	s_mov_b32 s7, -1
	s_wait_alu 0xfffd
	v_cndmask_b32_e64 v7, 0, 1, vcc_lo
	v_cmp_gt_i32_e32 vcc_lo, 1, v20
	s_delay_alu instid0(VALU_DEP_2) | instskip(SKIP_4) | instid1(VALU_DEP_3)
	v_lshl_or_b32 v7, v7, 9, 0x7c00
	s_wait_alu 0xfffd
	v_cndmask_b32_e32 v5, v14, v5, vcc_lo
	v_cmp_gt_i32_e32 vcc_lo, 31, v19
	v_mov_b32_e32 v14, v17
	v_and_b32_e32 v18, 7, v5
	s_wait_alu 0xfffd
	v_cndmask_b32_e32 v1, 0x7c00, v1, vcc_lo
	v_cmp_eq_u32_e32 vcc_lo, 0x40f, v19
	v_lshrrev_b32_e32 v19, 16, v6
	v_lshrrev_b32_e32 v5, 2, v5
	v_cmp_eq_u32_e64 s0, 3, v18
	v_and_or_b32 v11, 0x1ff, v12, v11
	s_wait_alu 0xfffd
	v_cndmask_b32_e32 v1, v1, v7, vcc_lo
	v_cmp_lt_i32_e32 vcc_lo, 5, v18
	v_mul_f16_e32 v17, v92, v19
	v_mul_f64_e32 v[7:8], s[8:9], v[15:16]
	v_lshrrev_b32_e32 v22, 8, v12
	v_bfe_u32 v23, v12, 20, 11
	s_or_b32 vcc_lo, s0, vcc_lo
	v_fmac_f16_e32 v17, v90, v6
	s_wait_alu 0xfffe
	v_add_co_ci_u32_e32 v5, vcc_lo, 0, v5, vcc_lo
	v_cmp_ne_u32_e32 vcc_lo, 0, v9
	v_mad_co_u64_u32 v[15:16], null, s4, v87, 0
	v_cvt_f32_f16_e32 v17, v17
	v_and_or_b32 v21, 0x8000, v21, v1
	s_wait_alu 0xfffd
	v_cndmask_b32_e64 v9, 0, 1, vcc_lo
	v_cmp_ne_u32_e32 vcc_lo, 0, v11
	v_cvt_f64_f32_e32 v[17:18], v17
	v_mov_b32_e32 v1, v16
	s_delay_alu instid0(VALU_DEP_4) | instskip(SKIP_4) | instid1(VALU_DEP_3)
	v_lshl_or_b32 v9, v9, 9, 0x7c00
	s_wait_alu 0xfffd
	v_cndmask_b32_e64 v11, 0, 1, vcc_lo
	v_cmp_gt_i32_e32 vcc_lo, 31, v20
	v_mul_f16_e32 v16, v92, v6
	v_and_or_b32 v11, 0xffe, v22, v11
	v_sub_nc_u32_e32 v22, 0x3f1, v23
	s_delay_alu instid0(VALU_DEP_1)
	v_med3_i32 v22, v22, 0, 13
	s_wait_alu 0xfffd
	v_cndmask_b32_e32 v5, 0x7c00, v5, vcc_lo
	v_cmp_eq_u32_e32 vcc_lo, 0x40f, v20
	v_or_b32_e32 v20, 0x1000, v11
	s_wait_alu 0xfffd
	s_delay_alu instid0(VALU_DEP_3) | instskip(SKIP_3) | instid1(VALU_DEP_4)
	v_cndmask_b32_e32 v9, v5, v9, vcc_lo
	v_mad_co_u64_u32 v[5:6], null, s5, v87, v[1:2]
	v_fma_f16 v1, v90, v19, -v16
	v_lshrrev_b32_e32 v19, v22, v20
	v_and_or_b32 v6, 0x8000, v10, v9
	v_and_b32_e32 v9, 0xffff, v21
	v_and_or_b32 v7, 0x1ff, v8, v7
	v_cvt_f32_f16_e32 v1, v1
	v_lshlrev_b32_e32 v10, v22, v19
	v_mov_b32_e32 v16, v5
	v_lshl_or_b32 v21, v6, 16, v9
	v_lshrrev_b32_e32 v22, 8, v8
	v_cvt_f64_f32_e32 v[5:6], v1
	v_cmp_ne_u32_e32 vcc_lo, v10, v20
	v_lshlrev_b64_e32 v[9:10], 2, v[13:14]
	v_lshlrev_b64_e32 v[15:16], 2, v[15:16]
	v_mul_f64_e32 v[13:14], s[8:9], v[17:18]
	ds_load_2addr_b32 v[17:18], v4 offset0:104 offset1:181
	s_wait_alu 0xfffd
	v_cndmask_b32_e64 v1, 0, 1, vcc_lo
	v_cmp_ne_u32_e32 vcc_lo, 0, v7
	s_delay_alu instid0(VALU_DEP_2)
	v_or_b32_e32 v1, v19, v1
	v_add_nc_u32_e32 v20, 0xfffffc10, v23
	s_wait_alu 0xfffd
	v_cndmask_b32_e64 v7, 0, 1, vcc_lo
	v_bfe_u32 v23, v8, 20, 11
	v_lshrrev_b32_e32 v8, 16, v8
	v_lshl_or_b32 v19, v20, 12, v11
	s_delay_alu instid0(VALU_DEP_4) | instskip(NEXT) | instid1(VALU_DEP_4)
	v_and_or_b32 v22, 0xffe, v22, v7
	v_sub_nc_u32_e32 v7, 0x3f1, v23
	v_cmp_gt_i32_e32 vcc_lo, 1, v20
	s_delay_alu instid0(VALU_DEP_3) | instskip(NEXT) | instid1(VALU_DEP_3)
	v_or_b32_e32 v4, 0x1000, v22
	v_med3_i32 v7, v7, 0, 13
	s_wait_alu 0xfffd
	v_cndmask_b32_e32 v1, v19, v1, vcc_lo
	v_add_co_u32 v9, vcc_lo, s2, v9
	s_wait_alu 0xfffd
	v_add_co_ci_u32_e32 v10, vcc_lo, s3, v10, vcc_lo
	v_lshrrev_b32_e32 v24, v7, v4
	v_and_b32_e32 v19, 7, v1
	v_add_co_u32 v9, vcc_lo, v9, v15
	s_wait_alu 0xfffd
	v_add_co_ci_u32_e32 v10, vcc_lo, v10, v16, vcc_lo
	v_lshlrev_b32_e32 v7, v7, v24
	v_cmp_lt_i32_e32 vcc_lo, 5, v19
	v_cmp_eq_u32_e64 s0, 3, v19
	v_lshrrev_b32_e32 v1, 2, v1
	v_add_nc_u32_e32 v16, 0xfffffc10, v23
	v_cmp_ne_u32_e64 s1, v7, v4
	v_mul_f64_e32 v[4:5], s[8:9], v[5:6]
	s_or_b32 vcc_lo, s0, vcc_lo
	s_wait_dscnt 0x0
	v_lshrrev_b32_e32 v15, 16, v17
	s_wait_alu 0xfffe
	v_add_co_ci_u32_e32 v1, vcc_lo, 0, v1, vcc_lo
	v_cndmask_b32_e64 v7, 0, 1, s1
	v_cmp_ne_u32_e32 vcc_lo, 0, v11
	v_lshl_or_b32 v19, v16, 12, v22
	v_mul_f16_e32 v6, v91, v15
	v_and_or_b32 v13, 0x1ff, v14, v13
	v_or_b32_e32 v7, v24, v7
	s_wait_alu 0xfffd
	v_cndmask_b32_e64 v11, 0, 1, vcc_lo
	v_cmp_gt_i32_e32 vcc_lo, 1, v16
	v_fmac_f16_e32 v6, v88, v17
	v_lshrrev_b32_e32 v24, 8, v14
	v_bfe_u32 v25, v14, 20, 11
	v_lshl_or_b32 v11, v11, 9, 0x7c00
	s_wait_alu 0xfffd
	v_cndmask_b32_e32 v19, v19, v7, vcc_lo
	v_cmp_gt_i32_e32 vcc_lo, 31, v20
	v_cvt_f32_f16_e32 v6, v6
	global_store_b32 v[9:10], v21, off
	s_mul_u64 s[2:3], s[4:5], 0x86c
	v_and_b32_e32 v23, 7, v19
	s_wait_alu 0xfffd
	v_cndmask_b32_e32 v1, 0x7c00, v1, vcc_lo
	v_cmp_ne_u32_e32 vcc_lo, 0, v13
	v_cvt_f64_f32_e32 v[6:7], v6
	s_mul_u64 s[4:5], s[4:5], s[6:7]
	v_cmp_eq_u32_e64 s0, 3, v23
	s_wait_alu 0xfffd
	v_cndmask_b32_e64 v13, 0, 1, vcc_lo
	v_cmp_eq_u32_e32 vcc_lo, 0x40f, v20
	v_lshrrev_b32_e32 v20, 16, v12
	v_lshrrev_b32_e32 v12, 2, v19
	s_delay_alu instid0(VALU_DEP_4)
	v_and_or_b32 v13, 0xffe, v24, v13
	s_wait_alu 0xfffd
	v_cndmask_b32_e32 v1, v1, v11, vcc_lo
	v_cmp_lt_i32_e32 vcc_lo, 5, v23
	v_sub_nc_u32_e32 v11, 0x3f1, v25
	v_and_or_b32 v4, 0x1ff, v5, v4
	v_or_b32_e32 v19, 0x1000, v13
	v_bfe_u32 v26, v5, 20, 11
	s_or_b32 vcc_lo, s0, vcc_lo
	v_med3_i32 v11, v11, 0, 13
	s_wait_alu 0xfffe
	v_add_co_ci_u32_e32 v12, vcc_lo, 0, v12, vcc_lo
	v_cmp_ne_u32_e32 vcc_lo, 0, v22
	v_and_or_b32 v1, 0x8000, v20, v1
	v_lshrrev_b32_e32 v23, v11, v19
	v_add_nc_u32_e32 v21, 0xfffffc10, v26
	s_wait_alu 0xfffd
	v_cndmask_b32_e64 v22, 0, 1, vcc_lo
	v_cmp_gt_i32_e32 vcc_lo, 31, v16
	v_lshlrev_b32_e32 v11, v11, v23
	v_and_b32_e32 v1, 0xffff, v1
	s_delay_alu instid0(VALU_DEP_4)
	v_lshl_or_b32 v22, v22, 9, 0x7c00
	s_wait_alu 0xfffd
	v_cndmask_b32_e32 v24, 0x7c00, v12, vcc_lo
	v_cmp_ne_u32_e32 vcc_lo, 0, v4
	v_mul_f16_e32 v12, v91, v17
	v_lshrrev_b32_e32 v17, 8, v5
	v_lshrrev_b32_e32 v5, 16, v5
	s_wait_alu 0xfffd
	v_cndmask_b32_e64 v4, 0, 1, vcc_lo
	v_cmp_ne_u32_e32 vcc_lo, v11, v19
	v_fma_f16 v12, v88, v15, -v12
	v_add_nc_u32_e32 v19, 0xfffffc10, v25
	v_sub_nc_u32_e32 v15, 0x3f1, v26
	v_and_or_b32 v4, 0xffe, v17, v4
	s_wait_alu 0xfffd
	v_cndmask_b32_e64 v11, 0, 1, vcc_lo
	v_cvt_f32_f16_e32 v12, v12
	v_cmp_gt_i32_e32 vcc_lo, 1, v19
	v_mul_f64_e32 v[6:7], s[8:9], v[6:7]
	v_or_b32_e32 v25, 0x1000, v4
	v_or_b32_e32 v17, v23, v11
	v_lshl_or_b32 v23, v19, 12, v13
	v_cvt_f64_f32_e32 v[11:12], v12
	v_med3_i32 v15, v15, 0, 13
	s_wait_alu 0xfffd
	s_delay_alu instid0(VALU_DEP_3) | instskip(SKIP_1) | instid1(VALU_DEP_2)
	v_cndmask_b32_e32 v17, v23, v17, vcc_lo
	v_cmp_eq_u32_e32 vcc_lo, 0x40f, v16
	v_and_b32_e32 v20, 7, v17
	s_wait_alu 0xfffd
	v_cndmask_b32_e32 v16, v24, v22, vcc_lo
	v_lshrrev_b32_e32 v22, v15, v25
	v_lshrrev_b32_e32 v17, 2, v17
	;; [unrolled: 1-line block ×3, first 2 shown]
	v_cmp_lt_i32_e32 vcc_lo, 5, v20
	v_cmp_eq_u32_e64 s0, 3, v20
	v_lshlrev_b32_e32 v15, v15, v22
	v_and_or_b32 v8, 0x8000, v8, v16
	s_delay_alu instid0(VALU_DEP_3) | instskip(NEXT) | instid1(VALU_DEP_2)
	s_or_b32 vcc_lo, s0, vcc_lo
	v_cmp_ne_u32_e64 s1, v15, v25
	s_wait_alu 0xfffe
	v_add_co_ci_u32_e32 v17, vcc_lo, 0, v17, vcc_lo
	ds_load_2addr_b32 v[15:16], v89 offset0:154 offset1:231
	v_cmp_ne_u32_e32 vcc_lo, 0, v13
	s_wait_alu 0xf1ff
	v_cndmask_b32_e64 v20, 0, 1, s1
	v_lshl_or_b32 v1, v8, 16, v1
	s_wait_alu 0xfffd
	v_cndmask_b32_e64 v13, 0, 1, vcc_lo
	v_cmp_gt_i32_e32 vcc_lo, 31, v19
	v_or_b32_e32 v20, v22, v20
	v_lshl_or_b32 v22, v21, 12, v4
	v_and_or_b32 v6, 0x1ff, v7, v6
	v_lshl_or_b32 v13, v13, 9, 0x7c00
	s_wait_alu 0xfffd
	v_cndmask_b32_e32 v17, 0x7c00, v17, vcc_lo
	v_cmp_gt_i32_e32 vcc_lo, 1, v21
	v_mul_f64_e32 v[11:12], s[8:9], v[11:12]
	s_wait_alu 0xfffd
	v_cndmask_b32_e32 v20, v22, v20, vcc_lo
	v_cmp_eq_u32_e32 vcc_lo, 0x40f, v19
	v_bfe_u32 v22, v7, 20, 11
	v_lshrrev_b32_e32 v19, 8, v7
	s_wait_alu 0xfffd
	v_cndmask_b32_e32 v8, v17, v13, vcc_lo
	s_wait_dscnt 0x0
	v_lshrrev_b32_e32 v17, 16, v15
	v_cmp_ne_u32_e32 vcc_lo, 0, v6
	v_and_b32_e32 v13, 7, v20
	v_sub_nc_u32_e32 v14, 0x3f1, v22
	v_and_or_b32 v8, 0x8000, v24, v8
	v_mul_f16_e32 v23, v86, v17
	s_wait_alu 0xfffd
	v_cndmask_b32_e64 v6, 0, 1, vcc_lo
	v_cmp_lt_i32_e32 vcc_lo, 5, v13
	v_cmp_eq_u32_e64 s0, 3, v13
	v_lshrrev_b32_e32 v13, 2, v20
	v_fmac_f16_e32 v23, v84, v15
	v_and_or_b32 v6, 0xffe, v19, v6
	v_med3_i32 v20, v14, 0, 13
	s_or_b32 vcc_lo, s0, vcc_lo
	v_mul_f16_e32 v15, v86, v15
	v_cvt_f32_f16_e32 v14, v23
	s_wait_alu 0xfffe
	v_add_co_ci_u32_e32 v23, vcc_lo, 0, v13, vcc_lo
	v_or_b32_e32 v19, 0x1000, v6
	v_cmp_ne_u32_e32 vcc_lo, 0, v4
	v_cvt_f64_f32_e32 v[13:14], v14
	v_fma_f16 v15, v84, v17, -v15
	s_delay_alu instid0(VALU_DEP_4)
	v_lshrrev_b32_e32 v25, v20, v19
	s_wait_alu 0xfffd
	v_cndmask_b32_e64 v4, 0, 1, vcc_lo
	v_cmp_gt_i32_e32 vcc_lo, 31, v21
	v_and_or_b32 v11, 0x1ff, v12, v11
	v_lshlrev_b32_e32 v20, v20, v25
	s_delay_alu instid0(VALU_DEP_4) | instskip(SKIP_4) | instid1(VALU_DEP_2)
	v_lshl_or_b32 v4, v4, 9, 0x7c00
	s_wait_alu 0xfffd
	v_cndmask_b32_e32 v23, 0x7c00, v23, vcc_lo
	v_cmp_eq_u32_e32 vcc_lo, 0x40f, v21
	s_wait_alu 0xfffd
	v_cndmask_b32_e32 v4, v23, v4, vcc_lo
	v_cmp_ne_u32_e32 vcc_lo, v20, v19
	v_add_nc_u32_e32 v20, 0xfffffc10, v22
	v_bfe_u32 v22, v12, 20, 11
	v_and_b32_e32 v23, 0xffff, v8
	v_and_or_b32 v17, 0x8000, v5, v4
	s_wait_alu 0xfffd
	v_cndmask_b32_e64 v19, 0, 1, vcc_lo
	v_cvt_f32_f16_e32 v4, v15
	v_cmp_ne_u32_e32 vcc_lo, 0, v11
	v_lshl_or_b32 v21, v20, 12, v6
	v_lshrrev_b32_e32 v15, 8, v12
	v_or_b32_e32 v19, v25, v19
	v_cvt_f64_f32_e32 v[4:5], v4
	s_wait_alu 0xfffd
	v_cndmask_b32_e64 v11, 0, 1, vcc_lo
	v_cmp_gt_i32_e32 vcc_lo, 1, v20
	v_lshl_or_b32 v23, v17, 16, v23
	v_lshrrev_b32_e32 v12, 16, v12
	s_delay_alu instid0(VALU_DEP_4)
	v_and_or_b32 v15, 0xffe, v15, v11
	s_wait_alu 0xfffd
	v_cndmask_b32_e32 v19, v21, v19, vcc_lo
	v_sub_nc_u32_e32 v11, 0x3f1, v22
	v_add_co_u32 v8, vcc_lo, v9, s2
	s_wait_alu 0xfffd
	v_add_co_ci_u32_e32 v9, vcc_lo, s3, v10, vcc_lo
	v_and_b32_e32 v21, 7, v19
	v_or_b32_e32 v24, 0x1000, v15
	v_med3_i32 v25, v11, 0, 13
	v_mul_f64_e32 v[10:11], s[8:9], v[13:14]
	v_lshrrev_b32_e32 v14, 2, v19
	v_cmp_lt_i32_e32 vcc_lo, 5, v21
	v_cmp_eq_u32_e64 s0, 3, v21
	v_lshrrev_b32_e32 v13, v25, v24
	v_add_nc_u32_e32 v19, 0xfffffc10, v22
	v_lshrrev_b32_e32 v21, 16, v18
	s_delay_alu instid0(VALU_DEP_4) | instskip(NEXT) | instid1(VALU_DEP_3)
	s_or_b32 vcc_lo, s0, vcc_lo
	v_lshlrev_b32_e32 v17, v25, v13
	s_wait_alu 0xfffe
	v_add_co_ci_u32_e32 v14, vcc_lo, 0, v14, vcc_lo
	v_cmp_ne_u32_e32 vcc_lo, 0, v6
	v_lshrrev_b32_e32 v25, 16, v83
	s_wait_alu 0xfffd
	v_cndmask_b32_e64 v6, 0, 1, vcc_lo
	v_cmp_ne_u32_e32 vcc_lo, v17, v24
	s_delay_alu instid0(VALU_DEP_3)
	v_mul_f16_e32 v22, v25, v21
	v_mul_f64_e32 v[4:5], s[8:9], v[4:5]
	s_wait_alu 0xfffd
	v_cndmask_b32_e64 v17, 0, 1, vcc_lo
	v_cmp_gt_i32_e32 vcc_lo, 31, v20
	v_lshl_or_b32 v6, v6, 9, 0x7c00
	v_fmac_f16_e32 v22, v83, v18
	v_mul_f16_e32 v18, v25, v18
	v_or_b32_e32 v13, v13, v17
	s_wait_alu 0xfffd
	v_cndmask_b32_e32 v14, 0x7c00, v14, vcc_lo
	v_lshl_or_b32 v17, v19, 12, v15
	v_cmp_gt_i32_e32 vcc_lo, 1, v19
	v_cvt_f32_f16_e32 v22, v22
	v_fma_f16 v18, v83, v21, -v18
	s_wait_alu 0xfffd
	v_cndmask_b32_e32 v17, v17, v13, vcc_lo
	v_cmp_eq_u32_e32 vcc_lo, 0x40f, v20
	v_and_or_b32 v10, 0x1ff, v11, v10
	v_cvt_f32_f16_e32 v18, v18
	s_wait_alu 0xfffd
	v_dual_cndmask_b32 v13, v14, v6 :: v_dual_and_b32 v20, 7, v17
	v_lshrrev_b32_e32 v14, 16, v7
	v_add_co_u32 v6, vcc_lo, v8, s4
	v_cmp_ne_u32_e64 s1, 0, v10
	s_wait_alu 0xfffd
	v_add_co_ci_u32_e32 v7, vcc_lo, s5, v9, vcc_lo
	v_and_or_b32 v24, 0x8000, v14, v13
	v_cvt_f64_f32_e32 v[13:14], v22
	v_cmp_lt_i32_e32 vcc_lo, 5, v20
	v_cmp_eq_u32_e64 s0, 3, v20
	v_lshrrev_b32_e32 v17, 2, v17
	s_wait_alu 0xf1ff
	v_cndmask_b32_e64 v10, 0, 1, s1
	v_lshrrev_b32_e32 v20, 8, v11
	v_bfe_u32 v22, v11, 20, 11
	s_or_b32 vcc_lo, s0, vcc_lo
	s_clause 0x1
	global_store_b32 v[8:9], v1, off
	global_store_b32 v[6:7], v23, off
	s_wait_alu 0xfffe
	v_add_co_ci_u32_e32 v17, vcc_lo, 0, v17, vcc_lo
	v_and_or_b32 v10, 0xffe, v20, v10
	v_sub_nc_u32_e32 v20, 0x3f1, v22
	v_cmp_ne_u32_e32 vcc_lo, 0, v15
	v_and_or_b32 v4, 0x1ff, v5, v4
	s_delay_alu instid0(VALU_DEP_4) | instskip(NEXT) | instid1(VALU_DEP_4)
	v_or_b32_e32 v21, 0x1000, v10
	v_med3_i32 v20, v20, 0, 13
	s_wait_alu 0xfffd
	v_cndmask_b32_e64 v15, 0, 1, vcc_lo
	v_cmp_gt_i32_e32 vcc_lo, 31, v19
	s_delay_alu instid0(VALU_DEP_3) | instskip(NEXT) | instid1(VALU_DEP_3)
	v_lshrrev_b32_e32 v26, v20, v21
	v_lshl_or_b32 v15, v15, 9, 0x7c00
	s_wait_alu 0xfffd
	v_cndmask_b32_e32 v25, 0x7c00, v17, vcc_lo
	v_cmp_eq_u32_e32 vcc_lo, 0x40f, v19
	v_cvt_f64_f32_e32 v[17:18], v18
	v_lshlrev_b32_e32 v19, v20, v26
	v_lshrrev_b32_e32 v20, 8, v5
	s_wait_alu 0xfffd
	v_cndmask_b32_e32 v15, v25, v15, vcc_lo
	v_cmp_ne_u32_e32 vcc_lo, 0, v4
	v_bfe_u32 v25, v5, 20, 11
	v_lshrrev_b32_e32 v5, 16, v5
	s_delay_alu instid0(VALU_DEP_4)
	v_and_or_b32 v12, 0x8000, v12, v15
	s_wait_alu 0xfffd
	v_cndmask_b32_e64 v4, 0, 1, vcc_lo
	v_cmp_ne_u32_e32 vcc_lo, v19, v21
	v_add_nc_u32_e32 v21, 0xfffffc10, v22
	v_mul_f64_e32 v[13:14], s[8:9], v[13:14]
	v_and_b32_e32 v15, 0xffff, v24
	v_and_or_b32 v4, 0xffe, v20, v4
	s_wait_alu 0xfffd
	v_cndmask_b32_e64 v19, 0, 1, vcc_lo
	v_sub_nc_u32_e32 v20, 0x3f1, v25
	v_lshl_or_b32 v22, v21, 12, v10
	v_cmp_gt_i32_e32 vcc_lo, 1, v21
	v_lshl_or_b32 v1, v12, 16, v15
	v_or_b32_e32 v19, v26, v19
	v_or_b32_e32 v26, 0x1000, v4
	v_med3_i32 v20, v20, 0, 13
	s_wait_alu 0xfffd
	s_delay_alu instid0(VALU_DEP_3) | instskip(SKIP_1) | instid1(VALU_DEP_3)
	v_cndmask_b32_e32 v19, v22, v19, vcc_lo
	v_add_co_u32 v6, vcc_lo, v6, s2
	v_lshrrev_b32_e32 v22, v20, v26
	s_wait_alu 0xfffd
	v_add_co_ci_u32_e32 v7, vcc_lo, s3, v7, vcc_lo
	v_and_b32_e32 v8, 7, v19
	v_lshrrev_b32_e32 v12, 2, v19
	v_lshlrev_b32_e32 v9, v20, v22
	v_add_nc_u32_e32 v19, 0xfffffc10, v25
	v_lshrrev_b32_e32 v25, 16, v80
	v_cmp_lt_i32_e32 vcc_lo, 5, v8
	v_cmp_eq_u32_e64 s0, 3, v8
	v_cmp_ne_u32_e64 s1, v9, v26
	v_mul_f64_e32 v[8:9], s[8:9], v[17:18]
	v_lshrrev_b32_e32 v17, 16, v16
	v_lshl_or_b32 v18, v19, 12, v4
	s_or_b32 vcc_lo, s0, vcc_lo
	v_cndmask_b32_e64 v15, 0, 1, s1
	s_wait_alu 0xfffe
	v_add_co_ci_u32_e32 v12, vcc_lo, 0, v12, vcc_lo
	v_cmp_ne_u32_e32 vcc_lo, 0, v10
	v_mul_f16_e32 v20, v25, v17
	v_or_b32_e32 v15, v22, v15
	global_store_b32 v[6:7], v1, off
	v_and_or_b32 v13, 0x1ff, v14, v13
	s_wait_alu 0xfffd
	v_cndmask_b32_e64 v10, 0, 1, vcc_lo
	v_cmp_gt_i32_e32 vcc_lo, 1, v19
	v_bfe_u32 v24, v14, 20, 11
	v_fmac_f16_e32 v20, v80, v16
	v_lshrrev_b32_e32 v23, 8, v14
	v_lshl_or_b32 v10, v10, 9, 0x7c00
	s_wait_alu 0xfffd
	v_cndmask_b32_e32 v15, v18, v15, vcc_lo
	v_cmp_gt_i32_e32 vcc_lo, 31, v21
	v_mul_f16_e32 v16, v25, v16
	v_lshrrev_b32_e32 v14, 16, v14
	s_wait_alu 0xfffd
	v_cndmask_b32_e32 v18, 0x7c00, v12, vcc_lo
	v_cmp_ne_u32_e32 vcc_lo, 0, v13
	v_cvt_f32_f16_e32 v12, v20
	s_wait_alu 0xfffd
	v_cndmask_b32_e64 v20, 0, 1, vcc_lo
	v_cmp_eq_u32_e32 vcc_lo, 0x40f, v21
	s_delay_alu instid0(VALU_DEP_3) | instskip(NEXT) | instid1(VALU_DEP_3)
	v_cvt_f64_f32_e32 v[12:13], v12
	v_and_or_b32 v20, 0xffe, v23, v20
	s_wait_alu 0xfffd
	v_cndmask_b32_e32 v18, v18, v10, vcc_lo
	v_sub_nc_u32_e32 v10, 0x3f1, v24
	v_add_nc_u32_e32 v24, 0xfffffc10, v24
	v_and_b32_e32 v22, 7, v15
	v_lshrrev_b32_e32 v15, 2, v15
	v_or_b32_e32 v21, 0x1000, v20
	v_med3_i32 v10, v10, 0, 13
	v_and_or_b32 v8, 0x1ff, v9, v8
	v_cmp_lt_i32_e32 vcc_lo, 5, v22
	v_cmp_eq_u32_e64 s0, 3, v22
	v_lshrrev_b32_e32 v22, 16, v11
	s_delay_alu instid0(VALU_DEP_2) | instskip(NEXT) | instid1(VALU_DEP_1)
	s_or_b32 vcc_lo, s0, vcc_lo
	v_and_or_b32 v1, 0x8000, v22, v18
	s_wait_alu 0xfffe
	v_add_co_ci_u32_e32 v11, vcc_lo, 0, v15, vcc_lo
	v_lshrrev_b32_e32 v15, v10, v21
	v_cmp_gt_i32_e32 vcc_lo, 31, v19
	v_and_b32_e32 v1, 0xffff, v1
	s_delay_alu instid0(VALU_DEP_3)
	v_lshlrev_b32_e32 v10, v10, v15
	s_wait_alu 0xfffd
	v_cndmask_b32_e32 v23, 0x7c00, v11, vcc_lo
	v_cmp_ne_u32_e32 vcc_lo, 0, v8
	v_fma_f16 v11, v80, v17, -v16
	v_lshrrev_b32_e32 v16, 8, v9
	v_bfe_u32 v17, v9, 20, 11
	v_lshrrev_b32_e32 v9, 16, v9
	s_wait_alu 0xfffd
	v_cndmask_b32_e64 v8, 0, 1, vcc_lo
	v_cmp_ne_u32_e32 vcc_lo, v10, v21
	v_cvt_f32_f16_e32 v11, v11
	v_mul_f64_e32 v[12:13], s[8:9], v[12:13]
	s_delay_alu instid0(VALU_DEP_4)
	v_and_or_b32 v8, 0xffe, v16, v8
	s_wait_alu 0xfffd
	v_cndmask_b32_e64 v21, 0, 1, vcc_lo
	v_sub_nc_u32_e32 v16, 0x3f1, v17
	v_cmp_ne_u32_e32 vcc_lo, 0, v4
	v_cvt_f64_f32_e32 v[10:11], v11
	v_or_b32_e32 v25, 0x1000, v8
	v_or_b32_e32 v15, v15, v21
	v_lshl_or_b32 v21, v24, 12, v20
	s_wait_alu 0xfffd
	v_cndmask_b32_e64 v4, 0, 1, vcc_lo
	v_med3_i32 v26, v16, 0, 13
	v_cmp_gt_i32_e32 vcc_lo, 1, v24
	v_add_nc_u32_e32 v17, 0xfffffc10, v17
	s_delay_alu instid0(VALU_DEP_4) | instskip(NEXT) | instid1(VALU_DEP_4)
	v_lshl_or_b32 v4, v4, 9, 0x7c00
	v_lshrrev_b32_e32 v27, v26, v25
	s_wait_alu 0xfffd
	v_cndmask_b32_e32 v21, v21, v15, vcc_lo
	v_cmp_eq_u32_e32 vcc_lo, 0x40f, v19
	ds_load_2addr_b32 v[15:16], v2 offset0:2 offset1:79
	s_wait_alu 0xfffd
	v_dual_cndmask_b32 v4, v23, v4 :: v_dual_and_b32 v19, 7, v21
	v_lshlrev_b32_e32 v23, v26, v27
	s_delay_alu instid0(VALU_DEP_2) | instskip(NEXT) | instid1(VALU_DEP_3)
	v_cmp_lt_i32_e32 vcc_lo, 5, v19
	v_and_or_b32 v18, 0x8000, v5, v4
	s_delay_alu instid0(VALU_DEP_3) | instskip(SKIP_1) | instid1(VALU_DEP_3)
	v_cmp_ne_u32_e64 s0, v23, v25
	v_lshrrev_b32_e32 v5, 2, v21
	v_lshl_or_b32 v1, v18, 16, v1
	s_wait_alu 0xf1ff
	s_delay_alu instid0(VALU_DEP_3) | instskip(SKIP_2) | instid1(VALU_DEP_3)
	v_cndmask_b32_e64 v4, 0, 1, s0
	v_cmp_eq_u32_e64 s0, 3, v19
	v_lshl_or_b32 v19, v17, 12, v8
	v_or_b32_e32 v4, v27, v4
	s_delay_alu instid0(VALU_DEP_3)
	s_or_b32 vcc_lo, s0, vcc_lo
	s_wait_dscnt 0x0
	v_lshrrev_b32_e32 v22, 16, v15
	s_wait_alu 0xfffe
	v_add_co_ci_u32_e32 v21, vcc_lo, 0, v5, vcc_lo
	v_cmp_gt_i32_e32 vcc_lo, 1, v17
	v_lshrrev_b32_e32 v27, 16, v79
	v_and_or_b32 v12, 0x1ff, v13, v12
	v_lshrrev_b32_e32 v23, 8, v13
	v_bfe_u32 v25, v13, 20, 11
	s_wait_alu 0xfffd
	v_cndmask_b32_e32 v19, v19, v4, vcc_lo
	v_cmp_ne_u32_e32 vcc_lo, 0, v20
	v_mul_f64_e32 v[4:5], s[8:9], v[10:11]
	v_mul_f16_e32 v10, v27, v22
	v_cmp_ne_u32_e64 s1, 0, v12
	v_and_b32_e32 v11, 7, v19
	s_wait_alu 0xfffd
	v_cndmask_b32_e64 v20, 0, 1, vcc_lo
	v_cmp_gt_i32_e32 vcc_lo, 31, v24
	v_fmac_f16_e32 v10, v79, v15
	v_lshrrev_b32_e32 v19, 2, v19
	v_cmp_eq_u32_e64 s0, 3, v11
	s_wait_alu 0xf1ff
	v_cndmask_b32_e64 v12, 0, 1, s1
	s_wait_alu 0xfffd
	v_cndmask_b32_e32 v21, 0x7c00, v21, vcc_lo
	v_cmp_lt_i32_e32 vcc_lo, 5, v11
	v_cvt_f32_f16_e32 v10, v10
	v_lshl_or_b32 v20, v20, 9, 0x7c00
	v_and_or_b32 v12, 0xffe, v23, v12
	v_sub_nc_u32_e32 v23, 0x3f1, v25
	s_or_b32 vcc_lo, s0, vcc_lo
	v_cvt_f64_f32_e32 v[10:11], v10
	s_wait_alu 0xfffe
	v_add_co_ci_u32_e32 v19, vcc_lo, 0, v19, vcc_lo
	v_cmp_ne_u32_e32 vcc_lo, 0, v8
	v_or_b32_e32 v26, 0x1000, v12
	v_med3_i32 v23, v23, 0, 13
	s_wait_alu 0xfffd
	v_cndmask_b32_e64 v8, 0, 1, vcc_lo
	v_cmp_gt_i32_e32 vcc_lo, 31, v17
	s_delay_alu instid0(VALU_DEP_2)
	v_lshl_or_b32 v8, v8, 9, 0x7c00
	s_wait_alu 0xfffd
	v_cndmask_b32_e32 v19, 0x7c00, v19, vcc_lo
	v_cmp_eq_u32_e32 vcc_lo, 0x40f, v24
	s_wait_alu 0xfffd
	v_cndmask_b32_e32 v20, v21, v20, vcc_lo
	v_lshrrev_b32_e32 v21, v23, v26
	v_cmp_eq_u32_e32 vcc_lo, 0x40f, v17
	v_and_or_b32 v4, 0x1ff, v5, v4
	s_delay_alu instid0(VALU_DEP_4) | instskip(NEXT) | instid1(VALU_DEP_4)
	v_and_or_b32 v14, 0x8000, v14, v20
	v_lshlrev_b32_e32 v17, v23, v21
	s_wait_alu 0xfffd
	v_dual_cndmask_b32 v8, v19, v8 :: v_dual_add_nc_u32 v19, 0xfffffc10, v25
	s_delay_alu instid0(VALU_DEP_3) | instskip(NEXT) | instid1(VALU_DEP_3)
	v_and_b32_e32 v14, 0xffff, v14
	v_cmp_ne_u32_e32 vcc_lo, v17, v26
	s_delay_alu instid0(VALU_DEP_3)
	v_and_or_b32 v18, 0x8000, v9, v8
	v_mul_f16_e32 v8, v27, v15
	v_lshrrev_b32_e32 v15, 8, v5
	v_bfe_u32 v17, v5, 20, 11
	s_wait_alu 0xfffd
	v_cndmask_b32_e64 v9, 0, 1, vcc_lo
	v_cmp_ne_u32_e32 vcc_lo, 0, v4
	v_fma_f16 v8, v79, v22, -v8
	v_lshl_or_b32 v25, v18, 16, v14
	v_lshrrev_b32_e32 v5, 16, v5
	v_or_b32_e32 v20, v21, v9
	s_wait_alu 0xfffd
	v_cndmask_b32_e64 v4, 0, 1, vcc_lo
	v_cvt_f32_f16_e32 v21, v8
	v_mul_f64_e32 v[8:9], s[8:9], v[10:11]
	v_cmp_gt_i32_e32 vcc_lo, 1, v19
	s_delay_alu instid0(VALU_DEP_4) | instskip(SKIP_3) | instid1(VALU_DEP_4)
	v_and_or_b32 v22, 0xffe, v15, v4
	v_sub_nc_u32_e32 v4, 0x3f1, v17
	v_cvt_f64_f32_e32 v[10:11], v21
	v_lshl_or_b32 v15, v19, 12, v12
	v_or_b32_e32 v21, 0x1000, v22
	s_delay_alu instid0(VALU_DEP_4)
	v_med3_i32 v23, v4, 0, 13
	ds_load_2addr_b32 v[3:4], v3 offset0:52 offset1:129
	s_wait_alu 0xfffd
	v_cndmask_b32_e32 v20, v15, v20, vcc_lo
	v_add_co_u32 v6, vcc_lo, v6, s4
	v_lshrrev_b32_e32 v24, v23, v21
	s_wait_alu 0xfffd
	v_add_co_ci_u32_e32 v7, vcc_lo, s5, v7, vcc_lo
	v_and_b32_e32 v18, 7, v20
	v_add_co_u32 v14, vcc_lo, v6, s2
	v_lshlrev_b32_e32 v23, v23, v24
	s_wait_alu 0xfffd
	v_add_co_ci_u32_e32 v15, vcc_lo, s3, v7, vcc_lo
	v_cmp_lt_i32_e32 vcc_lo, 5, v18
	v_cmp_eq_u32_e64 s0, 3, v18
	v_lshrrev_b32_e32 v18, 2, v20
	v_cmp_ne_u32_e64 s1, v23, v21
	v_add_nc_u32_e32 v21, 0xfffffc10, v17
	global_store_b32 v[6:7], v1, off
	global_store_b32 v[14:15], v25, off
	s_or_b32 vcc_lo, s0, vcc_lo
	s_wait_dscnt 0x0
	v_lshrrev_b32_e32 v23, 16, v3
	s_wait_alu 0xfffe
	v_add_co_ci_u32_e32 v17, vcc_lo, 0, v18, vcc_lo
	v_cndmask_b32_e64 v20, 0, 1, s1
	v_cmp_ne_u32_e32 vcc_lo, 0, v12
	v_lshrrev_b32_e32 v25, 16, v75
	s_delay_alu instid0(VALU_DEP_3)
	v_or_b32_e32 v18, v24, v20
	v_lshl_or_b32 v20, v21, 12, v22
	v_mul_f16_e32 v24, v29, v23
	s_wait_alu 0xfffd
	v_cndmask_b32_e64 v12, 0, 1, vcc_lo
	v_cmp_gt_i32_e32 vcc_lo, 1, v21
	v_and_or_b32 v8, 0x1ff, v9, v8
	v_mul_f64_e32 v[10:11], s[8:9], v[10:11]
	v_fmac_f16_e32 v24, v76, v3
	v_lshl_or_b32 v12, v12, 9, 0x7c00
	s_wait_alu 0xfffd
	v_cndmask_b32_e32 v20, v20, v18, vcc_lo
	v_cmp_gt_i32_e32 vcc_lo, 31, v19
	v_lshrrev_b32_e32 v27, 8, v9
	v_bfe_u32 v28, v9, 20, 11
	v_mul_f16_e32 v3, v29, v3
	s_wait_alu 0xfffd
	v_cndmask_b32_e32 v26, 0x7c00, v17, vcc_lo
	v_cvt_f32_f16_e32 v17, v24
	v_cmp_ne_u32_e32 vcc_lo, 0, v8
	v_and_b32_e32 v24, 7, v20
	v_fma_f16 v3, v76, v23, -v3
	s_delay_alu instid0(VALU_DEP_4)
	v_cvt_f64_f32_e32 v[17:18], v17
	s_wait_alu 0xfffd
	v_cndmask_b32_e64 v8, 0, 1, vcc_lo
	v_cmp_eq_u32_e32 vcc_lo, 0x40f, v19
	v_cmp_eq_u32_e64 s0, 3, v24
	v_cvt_f32_f16_e32 v3, v3
	s_delay_alu instid0(VALU_DEP_4)
	v_and_or_b32 v27, 0xffe, v27, v8
	s_wait_alu 0xfffd
	v_cndmask_b32_e32 v19, v26, v12, vcc_lo
	v_cmp_lt_i32_e32 vcc_lo, 5, v24
	v_lshrrev_b32_e32 v12, 2, v20
	v_sub_nc_u32_e32 v8, 0x3f1, v28
	v_or_b32_e32 v20, 0x1000, v27
	v_lshrrev_b32_e32 v26, 16, v13
	s_or_b32 vcc_lo, s0, vcc_lo
	s_wait_alu 0xfffe
	v_add_co_ci_u32_e32 v12, vcc_lo, 0, v12, vcc_lo
	v_cmp_ne_u32_e32 vcc_lo, 0, v22
	v_med3_i32 v8, v8, 0, 13
	s_wait_alu 0xfffd
	v_cndmask_b32_e64 v13, 0, 1, vcc_lo
	v_cmp_gt_i32_e32 vcc_lo, 31, v21
	s_delay_alu instid0(VALU_DEP_3) | instskip(SKIP_1) | instid1(VALU_DEP_4)
	v_lshrrev_b32_e32 v22, v8, v20
	v_and_or_b32 v10, 0x1ff, v11, v10
	v_lshl_or_b32 v24, v13, 9, 0x7c00
	s_wait_alu 0xfffd
	v_cndmask_b32_e32 v23, 0x7c00, v12, vcc_lo
	v_cvt_f64_f32_e32 v[12:13], v3
	v_lshlrev_b32_e32 v8, v8, v22
	v_cmp_eq_u32_e32 vcc_lo, 0x40f, v21
	v_and_or_b32 v3, 0x8000, v26, v19
	v_lshrrev_b32_e32 v21, 8, v11
	s_wait_alu 0xfffd
	v_cndmask_b32_e32 v19, v23, v24, vcc_lo
	v_cmp_ne_u32_e32 vcc_lo, v8, v20
	v_mul_f64_e32 v[17:18], s[8:9], v[17:18]
	v_add_nc_u32_e32 v20, 0xfffffc10, v28
	v_bfe_u32 v23, v11, 20, 11
	v_and_or_b32 v5, 0x8000, v5, v19
	s_wait_alu 0xfffd
	v_cndmask_b32_e64 v8, 0, 1, vcc_lo
	v_cmp_ne_u32_e32 vcc_lo, 0, v10
	v_lshl_or_b32 v19, v20, 12, v27
	v_and_b32_e32 v3, 0xffff, v3
	v_lshrrev_b32_e32 v11, 16, v11
	v_or_b32_e32 v8, v22, v8
	s_wait_alu 0xfffd
	v_cndmask_b32_e64 v10, 0, 1, vcc_lo
	v_cmp_gt_i32_e32 vcc_lo, 1, v20
	v_lshl_or_b32 v1, v5, 16, v3
	s_delay_alu instid0(VALU_DEP_3)
	v_and_or_b32 v21, 0xffe, v21, v10
	v_sub_nc_u32_e32 v10, 0x3f1, v23
	s_wait_alu 0xfffd
	v_cndmask_b32_e32 v19, v19, v8, vcc_lo
	v_add_co_u32 v5, vcc_lo, v14, s4
	v_or_b32_e32 v22, 0x1000, v21
	v_med3_i32 v8, v10, 0, 13
	s_delay_alu instid0(VALU_DEP_4)
	v_and_b32_e32 v3, 7, v19
	s_wait_alu 0xfffd
	v_add_co_ci_u32_e32 v6, vcc_lo, s5, v15, vcc_lo
	v_lshrrev_b32_e32 v14, 16, v16
	v_lshrrev_b32_e32 v10, v8, v22
	v_cmp_lt_i32_e32 vcc_lo, 5, v3
	v_cmp_eq_u32_e64 s0, 3, v3
	global_store_b32 v[5:6], v1, off
	v_mul_f16_e32 v3, v25, v14
	v_lshlrev_b32_e32 v15, v8, v10
	v_mul_f64_e32 v[7:8], s[8:9], v[12:13]
	v_lshrrev_b32_e32 v12, 2, v19
	s_or_b32 vcc_lo, s0, vcc_lo
	v_fmac_f16_e32 v3, v75, v16
	v_cmp_ne_u32_e64 s1, v15, v22
	v_add_nc_u32_e32 v15, 0xfffffc10, v23
	s_wait_alu 0xfffe
	v_add_co_ci_u32_e32 v19, vcc_lo, 0, v12, vcc_lo
	v_cmp_ne_u32_e32 vcc_lo, 0, v27
	s_wait_alu 0xf1ff
	v_cndmask_b32_e64 v13, 0, 1, s1
	v_cvt_f32_f16_e32 v3, v3
	v_lshl_or_b32 v22, v15, 12, v21
	v_and_or_b32 v17, 0x1ff, v18, v17
	s_wait_alu 0xfffd
	v_cndmask_b32_e64 v23, 0, 1, vcc_lo
	v_or_b32_e32 v10, v10, v13
	v_cmp_gt_i32_e32 vcc_lo, 1, v15
	v_cvt_f64_f32_e32 v[12:13], v3
	v_lshrrev_b32_e32 v27, 16, v71
	v_lshl_or_b32 v23, v23, 9, 0x7c00
	s_wait_alu 0xfffd
	v_cndmask_b32_e32 v3, v22, v10, vcc_lo
	v_cmp_ne_u32_e32 vcc_lo, 0, v17
	v_lshrrev_b32_e32 v17, 8, v18
	v_bfe_u32 v22, v18, 20, 11
	v_lshrrev_b32_e32 v18, 16, v18
	v_and_b32_e32 v24, 7, v3
	s_wait_alu 0xfffd
	v_cndmask_b32_e64 v10, 0, 1, vcc_lo
	v_cmp_gt_i32_e32 vcc_lo, 31, v20
	v_lshrrev_b32_e32 v3, 2, v3
	v_cmp_eq_u32_e64 s0, 3, v24
	s_delay_alu instid0(VALU_DEP_4)
	v_and_or_b32 v17, 0xffe, v17, v10
	v_sub_nc_u32_e32 v10, 0x3f1, v22
	s_wait_alu 0xfffd
	v_cndmask_b32_e32 v19, 0x7c00, v19, vcc_lo
	v_cmp_eq_u32_e32 vcc_lo, 0x40f, v20
	v_add_nc_u32_e32 v22, 0xfffffc10, v22
	v_or_b32_e32 v20, 0x1000, v17
	v_med3_i32 v10, v10, 0, 13
	v_and_or_b32 v7, 0x1ff, v8, v7
	s_wait_alu 0xfffd
	v_cndmask_b32_e32 v19, v19, v23, vcc_lo
	v_cmp_lt_i32_e32 vcc_lo, 5, v24
	v_lshrrev_b32_e32 v23, 16, v9
	v_lshrrev_b32_e32 v24, v10, v20
	v_mul_f16_e32 v9, v25, v16
	v_bfe_u32 v16, v8, 20, 11
	s_or_b32 vcc_lo, s0, vcc_lo
	s_wait_alu 0xfffe
	v_add_co_ci_u32_e32 v3, vcc_lo, 0, v3, vcc_lo
	v_lshlrev_b32_e32 v10, v10, v24
	v_cmp_ne_u32_e32 vcc_lo, 0, v7
	v_fma_f16 v9, v75, v14, -v9
	v_lshrrev_b32_e32 v14, 8, v8
	s_wait_alu 0xfffd
	v_cndmask_b32_e64 v7, 0, 1, vcc_lo
	v_cmp_ne_u32_e32 vcc_lo, v10, v20
	v_cvt_f32_f16_e32 v25, v9
	v_mul_f64_e32 v[9:10], s[8:9], v[12:13]
	s_delay_alu instid0(VALU_DEP_4)
	v_and_or_b32 v7, 0xffe, v14, v7
	s_wait_alu 0xfffd
	v_cndmask_b32_e64 v20, 0, 1, vcc_lo
	v_cmp_ne_u32_e32 vcc_lo, 0, v21
	v_sub_nc_u32_e32 v14, 0x3f1, v16
	v_add_nc_u32_e32 v16, 0xfffffc10, v16
	v_cvt_f64_f32_e32 v[12:13], v25
	v_or_b32_e32 v20, v24, v20
	s_wait_alu 0xfffd
	v_cndmask_b32_e64 v21, 0, 1, vcc_lo
	v_cmp_gt_i32_e32 vcc_lo, 31, v15
	v_lshl_or_b32 v24, v22, 12, v17
	v_or_b32_e32 v25, 0x1000, v7
	v_med3_i32 v14, v14, 0, 13
	v_lshl_or_b32 v21, v21, 9, 0x7c00
	s_wait_alu 0xfffd
	v_cndmask_b32_e32 v3, 0x7c00, v3, vcc_lo
	v_cmp_gt_i32_e32 vcc_lo, 1, v22
	v_and_or_b32 v1, 0x8000, v23, v19
	s_wait_alu 0xfffd
	v_cndmask_b32_e32 v20, v24, v20, vcc_lo
	v_lshrrev_b32_e32 v24, v14, v25
	v_cmp_eq_u32_e32 vcc_lo, 0x40f, v15
	s_delay_alu instid0(VALU_DEP_3) | instskip(SKIP_1) | instid1(VALU_DEP_3)
	v_and_b32_e32 v15, 7, v20
	s_wait_alu 0xfffd
	v_dual_cndmask_b32 v3, v3, v21 :: v_dual_lshlrev_b32 v14, v14, v24
	s_delay_alu instid0(VALU_DEP_2) | instskip(NEXT) | instid1(VALU_DEP_2)
	v_cmp_lt_i32_e32 vcc_lo, 5, v15
	v_cmp_ne_u32_e64 s0, v14, v25
	s_delay_alu instid0(VALU_DEP_3) | instskip(SKIP_2) | instid1(VALU_DEP_3)
	v_and_or_b32 v19, 0x8000, v11, v3
	v_lshl_or_b32 v11, v16, 12, v7
	s_wait_alu 0xf1ff
	v_cndmask_b32_e64 v3, 0, 1, s0
	v_cmp_eq_u32_e64 s0, 3, v15
	v_and_b32_e32 v15, 0xffff, v1
	v_lshrrev_b32_e32 v1, 2, v20
	v_and_or_b32 v9, 0x1ff, v10, v9
	v_or_b32_e32 v3, v24, v3
	s_or_b32 vcc_lo, s0, vcc_lo
	v_lshrrev_b32_e32 v24, 16, v73
	s_wait_alu 0xfffe
	v_add_co_ci_u32_e32 v1, vcc_lo, 0, v1, vcc_lo
	v_cmp_ne_u32_e32 vcc_lo, 0, v17
	v_lshrrev_b32_e32 v17, 16, v4
	v_lshrrev_b32_e32 v21, 8, v10
	v_bfe_u32 v23, v10, 20, 11
	v_lshl_or_b32 v19, v19, 16, v15
	s_wait_alu 0xfffd
	v_cndmask_b32_e64 v14, 0, 1, vcc_lo
	v_cmp_gt_i32_e32 vcc_lo, 1, v16
	v_lshrrev_b32_e32 v10, 16, v10
	s_delay_alu instid0(VALU_DEP_3)
	v_lshl_or_b32 v14, v14, 9, 0x7c00
	s_wait_alu 0xfffd
	v_cndmask_b32_e32 v3, v11, v3, vcc_lo
	v_mul_f64_e32 v[11:12], s[8:9], v[12:13]
	v_cmp_gt_i32_e32 vcc_lo, 31, v22
	v_mul_f16_e32 v13, v24, v17
	s_delay_alu instid0(VALU_DEP_4)
	v_and_b32_e32 v20, 7, v3
	v_lshrrev_b32_e32 v3, 2, v3
	s_wait_alu 0xfffd
	v_cndmask_b32_e32 v1, 0x7c00, v1, vcc_lo
	v_cmp_ne_u32_e32 vcc_lo, 0, v9
	v_fmac_f16_e32 v13, v73, v4
	v_cmp_eq_u32_e64 s0, 3, v20
	s_wait_alu 0xfffd
	v_cndmask_b32_e64 v9, 0, 1, vcc_lo
	v_cmp_eq_u32_e32 vcc_lo, 0x40f, v22
	v_cvt_f32_f16_e32 v13, v13
	s_delay_alu instid0(VALU_DEP_3)
	v_and_or_b32 v9, 0xffe, v21, v9
	s_wait_alu 0xfffd
	v_cndmask_b32_e32 v1, v1, v14, vcc_lo
	v_cmp_lt_i32_e32 vcc_lo, 5, v20
	v_sub_nc_u32_e32 v21, 0x3f1, v23
	v_cvt_f64_f32_e32 v[13:14], v13
	v_or_b32_e32 v20, 0x1000, v9
	v_and_or_b32 v18, 0x8000, v18, v1
	s_or_b32 vcc_lo, s0, vcc_lo
	v_med3_i32 v21, v21, 0, 13
	s_wait_alu 0xfffe
	v_add_co_ci_u32_e32 v3, vcc_lo, 0, v3, vcc_lo
	v_cmp_ne_u32_e32 vcc_lo, 0, v7
	v_mul_f16_e32 v1, v24, v4
	v_lshrrev_b32_e32 v22, v21, v20
	s_wait_alu 0xfffd
	v_cndmask_b32_e64 v7, 0, 1, vcc_lo
	v_cmp_gt_i32_e32 vcc_lo, 31, v16
	s_delay_alu instid0(VALU_DEP_3)
	v_lshlrev_b32_e32 v4, v21, v22
	v_fma_f16 v1, v73, v17, -v1
	v_lshrrev_b32_e32 v21, 16, v8
	v_lshl_or_b32 v7, v7, 9, 0x7c00
	s_wait_alu 0xfffd
	v_cndmask_b32_e32 v3, 0x7c00, v3, vcc_lo
	v_cmp_eq_u32_e32 vcc_lo, 0x40f, v16
	v_cvt_f32_f16_e32 v1, v1
	v_lshrrev_b32_e32 v17, 8, v12
	s_wait_alu 0xfffd
	v_cndmask_b32_e32 v16, v3, v7, vcc_lo
	v_and_or_b32 v3, 0x1ff, v12, v11
	v_cmp_ne_u32_e32 vcc_lo, v4, v20
	v_add_nc_u32_e32 v11, 0xfffffc10, v23
	v_bfe_u32 v20, v12, 20, 11
	v_and_or_b32 v15, 0x8000, v21, v16
	v_and_b32_e32 v16, 0xffff, v18
	s_wait_alu 0xfffd
	v_cndmask_b32_e64 v7, 0, 1, vcc_lo
	v_cmp_ne_u32_e32 vcc_lo, 0, v3
	v_cvt_f64_f32_e32 v[3:4], v1
	v_sub_nc_u32_e32 v23, 0x3f1, v20
	ds_load_2addr_b32 v[1:2], v2 offset0:156 offset1:233
	v_or_b32_e32 v7, v22, v7
	s_wait_alu 0xfffd
	v_cndmask_b32_e64 v8, 0, 1, vcc_lo
	v_lshl_or_b32 v22, v11, 12, v9
	v_cmp_gt_i32_e32 vcc_lo, 1, v11
	v_add_nc_u32_e32 v20, 0xfffffc10, v20
	s_delay_alu instid0(VALU_DEP_4)
	v_and_or_b32 v17, 0xffe, v17, v8
	s_wait_alu 0xfffd
	v_cndmask_b32_e32 v22, v22, v7, vcc_lo
	v_mul_f64_e32 v[7:8], s[8:9], v[13:14]
	v_med3_i32 v14, v23, 0, 13
	v_or_b32_e32 v13, 0x1000, v17
	v_add_co_u32 v5, vcc_lo, v5, s2
	v_and_b32_e32 v18, 7, v22
	s_wait_alu 0xfffd
	v_add_co_ci_u32_e32 v6, vcc_lo, s3, v6, vcc_lo
	v_lshrrev_b32_e32 v21, v14, v13
	v_lshl_or_b32 v23, v15, 16, v16
	v_cmp_lt_i32_e32 vcc_lo, 5, v18
	v_cmp_eq_u32_e64 s0, 3, v18
	v_lshrrev_b32_e32 v15, 2, v22
	v_lshlrev_b32_e32 v14, v14, v21
	s_wait_dscnt 0x0
	v_lshrrev_b32_e32 v18, 16, v1
	v_lshl_or_b32 v16, v20, 12, v17
	s_or_b32 vcc_lo, s0, vcc_lo
	v_cmp_ne_u32_e64 s1, v14, v13
	s_wait_alu 0xfffe
	v_add_co_ci_u32_e32 v15, vcc_lo, 0, v15, vcc_lo
	v_cmp_ne_u32_e32 vcc_lo, 0, v9
	v_mul_f16_e32 v14, v27, v18
	s_wait_alu 0xf1ff
	v_cndmask_b32_e64 v13, 0, 1, s1
	s_wait_alu 0xfffd
	v_cndmask_b32_e64 v9, 0, 1, vcc_lo
	v_cmp_gt_i32_e32 vcc_lo, 1, v20
	s_delay_alu instid0(VALU_DEP_3)
	v_or_b32_e32 v13, v21, v13
	v_fmac_f16_e32 v14, v71, v1
	v_mul_f64_e32 v[3:4], s[8:9], v[3:4]
	v_lshl_or_b32 v9, v9, 9, 0x7c00
	v_mul_f16_e32 v1, v27, v1
	s_wait_alu 0xfffd
	v_cndmask_b32_e32 v21, v16, v13, vcc_lo
	v_cmp_gt_i32_e32 vcc_lo, 31, v11
	v_cvt_f32_f16_e32 v13, v14
	v_fma_f16 v1, v71, v18, -v1
	v_and_or_b32 v7, 0x1ff, v8, v7
	s_wait_alu 0xfffd
	v_cndmask_b32_e32 v22, 0x7c00, v15, vcc_lo
	v_add_co_u32 v15, vcc_lo, v5, s4
	s_wait_alu 0xfffd
	v_add_co_ci_u32_e32 v16, vcc_lo, s5, v6, vcc_lo
	v_cmp_eq_u32_e32 vcc_lo, 0x40f, v11
	v_cvt_f64_f32_e32 v[13:14], v13
	v_cmp_ne_u32_e64 s0, 0, v7
	v_lshrrev_b32_e32 v11, 8, v8
	v_cvt_f32_f16_e32 v1, v1
	s_wait_alu 0xfffd
	v_cndmask_b32_e32 v9, v22, v9, vcc_lo
	v_bfe_u32 v22, v8, 20, 11
	s_wait_alu 0xf1ff
	v_cndmask_b32_e64 v7, 0, 1, s0
	global_store_b32 v[5:6], v19, off
	global_store_b32 v[15:16], v23, off
	v_lshrrev_b32_e32 v8, 16, v8
	v_and_or_b32 v25, 0x8000, v10, v9
	v_add_nc_u32_e32 v18, 0xfffffc10, v22
	v_and_b32_e32 v24, 7, v21
	v_lshrrev_b32_e32 v21, 2, v21
	v_and_or_b32 v7, 0xffe, v11, v7
	v_sub_nc_u32_e32 v11, 0x3f1, v22
	v_cmp_eq_u32_e64 s1, 0x40f, v18
	v_cmp_lt_i32_e32 vcc_lo, 5, v24
	v_cmp_eq_u32_e64 s0, 3, v24
	v_or_b32_e32 v24, 0x1000, v7
	v_med3_i32 v11, v11, 0, 13
	v_lshl_or_b32 v22, v18, 12, v7
	s_delay_alu instid0(VALU_DEP_4)
	s_or_b32 vcc_lo, s0, vcc_lo
	v_and_or_b32 v3, 0x1ff, v4, v3
	s_wait_alu 0xfffe
	v_add_co_ci_u32_e32 v21, vcc_lo, 0, v21, vcc_lo
	v_cmp_ne_u32_e32 vcc_lo, 0, v17
	v_lshrrev_b32_e32 v26, v11, v24
	s_wait_alu 0xfffd
	v_cndmask_b32_e64 v17, 0, 1, vcc_lo
	v_cmp_gt_i32_e32 vcc_lo, 31, v20
	s_delay_alu instid0(VALU_DEP_3) | instskip(NEXT) | instid1(VALU_DEP_3)
	v_lshlrev_b32_e32 v11, v11, v26
	v_lshl_or_b32 v17, v17, 9, 0x7c00
	s_wait_alu 0xfffd
	v_cndmask_b32_e32 v21, 0x7c00, v21, vcc_lo
	v_cmp_eq_u32_e32 vcc_lo, 0x40f, v20
	v_lshrrev_b32_e32 v20, 16, v12
	v_lshrrev_b32_e32 v12, 8, v4
	v_mul_f64_e32 v[9:10], s[8:9], v[13:14]
	s_wait_alu 0xfffd
	v_cndmask_b32_e32 v17, v21, v17, vcc_lo
	v_cmp_ne_u32_e32 vcc_lo, 0, v3
	v_bfe_u32 v21, v4, 20, 11
	v_lshrrev_b32_e32 v4, 16, v4
	s_wait_alu 0xfffd
	v_cndmask_b32_e64 v3, 0, 1, vcc_lo
	v_cmp_ne_u32_e32 vcc_lo, v11, v24
	v_sub_nc_u32_e32 v13, 0x3f1, v21
	s_delay_alu instid0(VALU_DEP_3) | instskip(SKIP_3) | instid1(VALU_DEP_3)
	v_and_or_b32 v3, 0xffe, v12, v3
	s_wait_alu 0xfffd
	v_cndmask_b32_e64 v11, 0, 1, vcc_lo
	v_cmp_gt_i32_e32 vcc_lo, 1, v18
	v_or_b32_e32 v24, 0x1000, v3
	s_delay_alu instid0(VALU_DEP_3)
	v_or_b32_e32 v14, v26, v11
	v_cvt_f64_f32_e32 v[11:12], v1
	v_med3_i32 v1, v13, 0, 13
	v_and_or_b32 v13, 0x8000, v20, v17
	s_wait_alu 0xfffd
	v_dual_cndmask_b32 v14, v22, v14 :: v_dual_and_b32 v17, 0xffff, v25
	v_add_co_u32 v5, vcc_lo, v15, s2
	v_lshrrev_b32_e32 v20, v1, v24
	s_delay_alu instid0(VALU_DEP_3) | instskip(NEXT) | instid1(VALU_DEP_4)
	v_lshl_or_b32 v17, v13, 16, v17
	v_and_b32_e32 v13, 7, v14
	v_lshrrev_b32_e32 v15, 16, v0
	s_wait_alu 0xfffd
	v_add_co_ci_u32_e32 v6, vcc_lo, s3, v16, vcc_lo
	v_lshlrev_b32_e32 v1, v1, v20
	v_cmp_lt_i32_e32 vcc_lo, 5, v13
	v_add_nc_u32_e32 v16, 0xfffffc10, v21
	s_delay_alu instid0(VALU_DEP_3)
	v_cmp_ne_u32_e64 s0, v1, v24
	v_lshrrev_b32_e32 v24, 16, v69
	v_and_or_b32 v9, 0x1ff, v10, v9
	v_bfe_u32 v21, v10, 20, 11
	s_wait_alu 0xf1ff
	v_cndmask_b32_e64 v1, 0, 1, s0
	v_cmp_eq_u32_e64 s0, 3, v13
	v_lshrrev_b32_e32 v13, 2, v14
	v_mul_f16_e32 v19, v24, v15
	v_lshl_or_b32 v14, v16, 12, v3
	v_or_b32_e32 v1, v20, v1
	s_or_b32 vcc_lo, s0, vcc_lo
	s_wait_alu 0xfffe
	v_add_co_ci_u32_e32 v20, vcc_lo, 0, v13, vcc_lo
	v_fmac_f16_e32 v19, v69, v0
	v_cmp_gt_i32_e32 vcc_lo, 1, v16
	s_delay_alu instid0(VALU_DEP_2)
	v_cvt_f32_f16_e32 v13, v19
	s_wait_alu 0xfffd
	v_cndmask_b32_e32 v1, v14, v1, vcc_lo
	v_cmp_ne_u32_e32 vcc_lo, 0, v9
	v_mul_f64_e32 v[11:12], s[8:9], v[11:12]
	v_lshrrev_b32_e32 v19, 8, v10
	v_cvt_f64_f32_e32 v[13:14], v13
	v_and_b32_e32 v22, 7, v1
	s_wait_alu 0xfffd
	v_cndmask_b32_e64 v9, 0, 1, vcc_lo
	v_cmp_ne_u32_e32 vcc_lo, 0, v7
	v_lshrrev_b32_e32 v1, 2, v1
	v_cmp_eq_u32_e64 s0, 3, v22
	s_delay_alu instid0(VALU_DEP_4)
	v_and_or_b32 v9, 0xffe, v19, v9
	s_wait_alu 0xfffd
	v_cndmask_b32_e64 v7, 0, 1, vcc_lo
	v_cmp_gt_i32_e32 vcc_lo, 31, v18
	v_sub_nc_u32_e32 v19, 0x3f1, v21
	v_or_b32_e32 v23, 0x1000, v9
	s_delay_alu instid0(VALU_DEP_4) | instskip(SKIP_4) | instid1(VALU_DEP_3)
	v_lshl_or_b32 v7, v7, 9, 0x7c00
	s_wait_alu 0xfffd
	v_cndmask_b32_e32 v20, 0x7c00, v20, vcc_lo
	v_cmp_lt_i32_e32 vcc_lo, 5, v22
	v_med3_i32 v19, v19, 0, 13
	v_cndmask_b32_e64 v7, v20, v7, s1
	s_or_b32 vcc_lo, s0, vcc_lo
	s_delay_alu instid0(VALU_DEP_2)
	v_lshrrev_b32_e32 v18, v19, v23
	s_wait_alu 0xfffe
	v_add_co_ci_u32_e32 v1, vcc_lo, 0, v1, vcc_lo
	v_cmp_ne_u32_e32 vcc_lo, 0, v3
	v_add_nc_u32_e32 v20, 0xfffffc10, v21
	v_lshlrev_b32_e32 v19, v19, v18
	v_and_or_b32 v7, 0x8000, v8, v7
	s_wait_alu 0xfffd
	v_cndmask_b32_e64 v3, 0, 1, vcc_lo
	v_cmp_gt_i32_e32 vcc_lo, 31, v16
	s_delay_alu instid0(VALU_DEP_3) | instskip(NEXT) | instid1(VALU_DEP_3)
	v_and_b32_e32 v7, 0xffff, v7
	v_lshl_or_b32 v3, v3, 9, 0x7c00
	s_wait_alu 0xfffd
	v_cndmask_b32_e32 v1, 0x7c00, v1, vcc_lo
	v_cmp_ne_u32_e32 vcc_lo, v19, v23
	v_and_or_b32 v11, 0x1ff, v12, v11
	v_lshrrev_b32_e32 v23, 16, v67
	s_wait_alu 0xfffd
	v_cndmask_b32_e64 v19, 0, 1, vcc_lo
	v_cmp_eq_u32_e32 vcc_lo, 0x40f, v16
	v_mul_f16_e32 v16, v24, v0
	s_delay_alu instid0(VALU_DEP_3)
	v_or_b32_e32 v8, v18, v19
	s_wait_alu 0xfffd
	v_cndmask_b32_e32 v3, v1, v3, vcc_lo
	v_mul_f64_e32 v[0:1], s[8:9], v[13:14]
	v_lshl_or_b32 v13, v20, 12, v9
	v_fma_f16 v14, v69, v15, -v16
	v_cmp_gt_i32_e32 vcc_lo, 1, v20
	v_bfe_u32 v15, v12, 20, 11
	v_and_or_b32 v16, 0x8000, v4, v3
	s_wait_alu 0xfffd
	v_cndmask_b32_e32 v8, v13, v8, vcc_lo
	v_cmp_ne_u32_e32 vcc_lo, 0, v11
	v_cvt_f32_f16_e32 v13, v14
	v_lshrrev_b32_e32 v14, 8, v12
	v_lshl_or_b32 v16, v16, 16, v7
	v_and_b32_e32 v18, 7, v8
	s_wait_alu 0xfffd
	v_cndmask_b32_e64 v11, 0, 1, vcc_lo
	v_cvt_f64_f32_e32 v[3:4], v13
	v_sub_nc_u32_e32 v13, 0x3f1, v15
	v_lshrrev_b32_e32 v7, 2, v8
	v_cmp_lt_i32_e32 vcc_lo, 5, v18
	v_and_or_b32 v11, 0xffe, v14, v11
	v_lshrrev_b32_e32 v14, 16, v2
	v_cmp_eq_u32_e64 s0, 3, v18
	v_med3_i32 v13, v13, 0, 13
	v_add_nc_u32_e32 v15, 0xfffffc10, v15
	v_or_b32_e32 v19, 0x1000, v11
	v_mul_f16_e32 v21, v23, v14
	s_or_b32 vcc_lo, s0, vcc_lo
	s_wait_alu 0xfffe
	v_add_co_ci_u32_e32 v7, vcc_lo, 0, v7, vcc_lo
	v_lshrrev_b32_e32 v18, v13, v19
	v_fmac_f16_e32 v21, v67, v2
	v_cmp_ne_u32_e32 vcc_lo, 0, v9
	v_mul_f16_e32 v2, v23, v2
	s_delay_alu instid0(VALU_DEP_4) | instskip(NEXT) | instid1(VALU_DEP_4)
	v_lshlrev_b32_e32 v9, v13, v18
	v_cvt_f32_f16_e32 v13, v21
	s_wait_alu 0xfffd
	v_cndmask_b32_e64 v8, 0, 1, vcc_lo
	v_cmp_gt_i32_e32 vcc_lo, 31, v20
	v_and_or_b32 v0, 0x1ff, v1, v0
	v_fma_f16 v14, v67, v14, -v2
	s_delay_alu instid0(VALU_DEP_4)
	v_lshl_or_b32 v22, v8, 9, 0x7c00
	s_wait_alu 0xfffd
	v_cndmask_b32_e32 v21, 0x7c00, v7, vcc_lo
	v_cvt_f64_f32_e32 v[7:8], v13
	v_cmp_ne_u32_e32 vcc_lo, v9, v19
	v_lshrrev_b32_e32 v13, 8, v1
	v_lshl_or_b32 v19, v15, 12, v11
	s_wait_alu 0xfffd
	v_cndmask_b32_e64 v9, 0, 1, vcc_lo
	v_cmp_ne_u32_e32 vcc_lo, 0, v0
	v_mul_f64_e32 v[2:3], s[8:9], v[3:4]
	s_delay_alu instid0(VALU_DEP_3)
	v_or_b32_e32 v9, v18, v9
	s_wait_alu 0xfffd
	v_cndmask_b32_e64 v0, 0, 1, vcc_lo
	v_bfe_u32 v18, v1, 20, 11
	v_cmp_gt_i32_e32 vcc_lo, 1, v15
	v_lshrrev_b32_e32 v1, 16, v1
	s_delay_alu instid0(VALU_DEP_4) | instskip(NEXT) | instid1(VALU_DEP_4)
	v_and_or_b32 v0, 0xffe, v13, v0
	v_sub_nc_u32_e32 v4, 0x3f1, v18
	v_cvt_f32_f16_e32 v13, v14
	s_wait_alu 0xfffd
	v_cndmask_b32_e32 v19, v19, v9, vcc_lo
	v_cmp_eq_u32_e32 vcc_lo, 0x40f, v20
	v_or_b32_e32 v23, 0x1000, v0
	v_med3_i32 v4, v4, 0, 13
	v_cvt_f64_f32_e32 v[13:14], v13
	v_add_nc_u32_e32 v18, 0xfffffc10, v18
	s_wait_alu 0xfffd
	v_cndmask_b32_e32 v20, v21, v22, vcc_lo
	v_and_b32_e32 v22, 7, v19
	v_add_co_u32 v9, vcc_lo, v5, s4
	v_lshrrev_b32_e32 v24, v4, v23
	v_lshrrev_b32_e32 v21, 16, v10
	s_wait_alu 0xfffd
	v_add_co_ci_u32_e32 v10, vcc_lo, s5, v6, vcc_lo
	v_cmp_lt_i32_e32 vcc_lo, 5, v22
	v_cmp_eq_u32_e64 s0, 3, v22
	v_lshrrev_b32_e32 v19, 2, v19
	v_lshlrev_b32_e32 v4, v4, v24
	v_mul_f64_e32 v[7:8], s[8:9], v[7:8]
	v_and_or_b32 v20, 0x8000, v21, v20
	s_or_b32 vcc_lo, s0, vcc_lo
	v_lshl_or_b32 v21, v18, 12, v0
	s_wait_alu 0xfffe
	v_add_co_ci_u32_e32 v19, vcc_lo, 0, v19, vcc_lo
	v_cmp_ne_u32_e64 s1, v4, v23
	v_cmp_ne_u32_e32 vcc_lo, 0, v11
	v_and_or_b32 v2, 0x1ff, v3, v2
	v_lshrrev_b32_e32 v22, 8, v3
	s_wait_alu 0xf1ff
	v_cndmask_b32_e64 v4, 0, 1, s1
	s_wait_alu 0xfffd
	v_cndmask_b32_e64 v11, 0, 1, vcc_lo
	v_cmp_gt_i32_e32 vcc_lo, 31, v15
	s_delay_alu instid0(VALU_DEP_3) | instskip(NEXT) | instid1(VALU_DEP_3)
	v_or_b32_e32 v4, v24, v4
	v_lshl_or_b32 v11, v11, 9, 0x7c00
	s_wait_alu 0xfffd
	v_cndmask_b32_e32 v19, 0x7c00, v19, vcc_lo
	v_cmp_gt_i32_e32 vcc_lo, 1, v18
	s_wait_alu 0xfffd
	v_cndmask_b32_e32 v4, v21, v4, vcc_lo
	v_cmp_eq_u32_e32 vcc_lo, 0x40f, v15
	s_delay_alu instid0(VALU_DEP_2)
	v_and_b32_e32 v21, 7, v4
	s_wait_alu 0xfffd
	v_cndmask_b32_e32 v15, v19, v11, vcc_lo
	v_cmp_ne_u32_e32 vcc_lo, 0, v2
	v_lshrrev_b32_e32 v19, 16, v12
	v_mul_f64_e32 v[11:12], s[8:9], v[13:14]
	v_bfe_u32 v13, v3, 20, 11
	v_cmp_eq_u32_e64 s0, 3, v21
	s_wait_alu 0xfffd
	v_cndmask_b32_e64 v2, 0, 1, vcc_lo
	v_cmp_lt_i32_e32 vcc_lo, 5, v21
	v_lshrrev_b32_e32 v4, 2, v4
	v_and_or_b32 v14, 0x8000, v19, v15
	v_and_b32_e32 v15, 0xffff, v20
	v_and_or_b32 v2, 0xffe, v22, v2
	v_sub_nc_u32_e32 v19, 0x3f1, v13
	s_or_b32 vcc_lo, s0, vcc_lo
	v_and_or_b32 v7, 0x1ff, v8, v7
	s_wait_alu 0xfffe
	v_add_co_ci_u32_e32 v4, vcc_lo, 0, v4, vcc_lo
	v_lshl_or_b32 v14, v14, 16, v15
	v_or_b32_e32 v15, 0x1000, v2
	v_med3_i32 v19, v19, 0, 13
	v_cmp_ne_u32_e32 vcc_lo, 0, v0
	v_lshrrev_b32_e32 v21, 8, v8
	v_bfe_u32 v22, v8, 20, 11
	v_add_nc_u32_e32 v13, 0xfffffc10, v13
	v_lshrrev_b32_e32 v20, v19, v15
	s_wait_alu 0xfffd
	v_cndmask_b32_e64 v0, 0, 1, vcc_lo
	v_cmp_gt_i32_e32 vcc_lo, 31, v18
	v_lshrrev_b32_e32 v3, 16, v3
	v_lshlrev_b32_e32 v19, v19, v20
	s_delay_alu instid0(VALU_DEP_4)
	v_lshl_or_b32 v0, v0, 9, 0x7c00
	s_wait_alu 0xfffd
	v_cndmask_b32_e32 v4, 0x7c00, v4, vcc_lo
	v_cmp_ne_u32_e32 vcc_lo, 0, v7
	s_wait_alu 0xfffd
	v_cndmask_b32_e64 v7, 0, 1, vcc_lo
	v_cmp_ne_u32_e32 vcc_lo, v19, v15
	v_sub_nc_u32_e32 v19, 0x3f1, v22
	v_and_or_b32 v11, 0x1ff, v12, v11
	s_delay_alu instid0(VALU_DEP_4)
	v_and_or_b32 v7, 0xffe, v21, v7
	s_wait_alu 0xfffd
	v_cndmask_b32_e64 v15, 0, 1, vcc_lo
	v_cmp_eq_u32_e32 vcc_lo, 0x40f, v18
	v_med3_i32 v19, v19, 0, 13
	v_bfe_u32 v21, v12, 20, 11
	v_or_b32_e32 v18, 0x1000, v7
	s_wait_alu 0xfffd
	v_cndmask_b32_e32 v0, v4, v0, vcc_lo
	v_or_b32_e32 v4, v20, v15
	v_lshl_or_b32 v15, v13, 12, v2
	v_cmp_gt_i32_e32 vcc_lo, 1, v13
	v_lshrrev_b32_e32 v20, 8, v12
	v_and_or_b32 v0, 0x8000, v1, v0
	s_wait_alu 0xfffd
	v_cndmask_b32_e32 v4, v15, v4, vcc_lo
	v_lshrrev_b32_e32 v15, v19, v18
	v_cmp_ne_u32_e32 vcc_lo, 0, v11
	s_delay_alu instid0(VALU_DEP_3) | instskip(NEXT) | instid1(VALU_DEP_3)
	v_and_b32_e32 v23, 7, v4
	v_lshlrev_b32_e32 v19, v19, v15
	s_wait_alu 0xfffd
	v_cndmask_b32_e64 v11, 0, 1, vcc_lo
	v_lshrrev_b32_e32 v4, 2, v4
	v_cmp_lt_i32_e32 vcc_lo, 5, v23
	v_cmp_ne_u32_e64 s0, v19, v18
	s_delay_alu instid0(VALU_DEP_4)
	v_and_or_b32 v1, 0xffe, v20, v11
	v_sub_nc_u32_e32 v11, 0x3f1, v21
	v_add_nc_u32_e32 v20, 0xfffffc10, v22
	s_wait_alu 0xf1ff
	v_cndmask_b32_e64 v18, 0, 1, s0
	v_cmp_eq_u32_e64 s0, 3, v23
	v_or_b32_e32 v19, 0x1000, v1
	v_med3_i32 v11, v11, 0, 13
	v_lshl_or_b32 v22, v20, 12, v7
	v_or_b32_e32 v15, v15, v18
	s_or_b32 vcc_lo, s0, vcc_lo
	s_wait_alu 0xfffe
	v_add_co_ci_u32_e32 v4, vcc_lo, 0, v4, vcc_lo
	v_lshrrev_b32_e32 v18, v11, v19
	v_cmp_gt_i32_e32 vcc_lo, 1, v20
	s_delay_alu instid0(VALU_DEP_2)
	v_lshlrev_b32_e32 v11, v11, v18
	s_wait_alu 0xfffd
	v_cndmask_b32_e32 v15, v22, v15, vcc_lo
	v_cmp_ne_u32_e32 vcc_lo, 0, v2
	s_wait_alu 0xfffd
	v_cndmask_b32_e64 v2, 0, 1, vcc_lo
	v_cmp_ne_u32_e32 vcc_lo, v11, v19
	v_add_nc_u32_e32 v19, 0xfffffc10, v21
	v_and_b32_e32 v21, 7, v15
	s_delay_alu instid0(VALU_DEP_4)
	v_lshl_or_b32 v2, v2, 9, 0x7c00
	s_wait_alu 0xfffd
	v_cndmask_b32_e64 v11, 0, 1, vcc_lo
	v_cmp_gt_i32_e32 vcc_lo, 31, v13
	v_cmp_gt_i32_e64 s1, 1, v19
	v_cmp_eq_u32_e64 s0, 3, v21
	s_delay_alu instid0(VALU_DEP_4)
	v_or_b32_e32 v11, v18, v11
	v_lshl_or_b32 v18, v19, 12, v1
	s_wait_alu 0xfffd
	v_cndmask_b32_e32 v4, 0x7c00, v4, vcc_lo
	v_cmp_lt_i32_e32 vcc_lo, 5, v21
	s_wait_alu 0xf1ff
	v_cndmask_b32_e64 v11, v18, v11, s1
	v_cmp_eq_u32_e64 s1, 0x40f, v13
	s_or_b32 vcc_lo, s0, vcc_lo
	s_delay_alu instid0(VALU_DEP_2) | instskip(NEXT) | instid1(VALU_DEP_2)
	v_and_b32_e32 v13, 7, v11
	v_cndmask_b32_e64 v2, v4, v2, s1
	v_lshrrev_b32_e32 v4, 2, v15
	v_lshrrev_b32_e32 v11, 2, v11
	v_cmp_gt_i32_e64 s1, 31, v20
	v_cmp_eq_u32_e64 s0, 3, v13
	v_and_or_b32 v2, 0x8000, v3, v2
	s_wait_alu 0xfffe
	v_add_co_ci_u32_e32 v4, vcc_lo, 0, v4, vcc_lo
	v_cmp_ne_u32_e32 vcc_lo, 0, v7
	v_and_b32_e32 v3, 0xffff, v0
	s_wait_alu 0xf1ff
	s_delay_alu instid0(VALU_DEP_3) | instskip(SKIP_3) | instid1(VALU_DEP_2)
	v_cndmask_b32_e64 v4, 0x7c00, v4, s1
	s_wait_alu 0xfffd
	v_cndmask_b32_e64 v7, 0, 1, vcc_lo
	v_cmp_lt_i32_e32 vcc_lo, 5, v13
	v_lshl_or_b32 v7, v7, 9, 0x7c00
	s_or_b32 vcc_lo, s0, vcc_lo
	s_wait_alu 0xfffe
	v_add_co_ci_u32_e32 v11, vcc_lo, 0, v11, vcc_lo
	v_cmp_ne_u32_e32 vcc_lo, 0, v1
	s_wait_alu 0xfffd
	v_cndmask_b32_e64 v1, 0, 1, vcc_lo
	v_cmp_eq_u32_e32 vcc_lo, 0x40f, v20
	s_delay_alu instid0(VALU_DEP_2)
	v_lshl_or_b32 v1, v1, 9, 0x7c00
	s_wait_alu 0xfffd
	v_cndmask_b32_e32 v4, v4, v7, vcc_lo
	v_cmp_gt_i32_e32 vcc_lo, 31, v19
	v_lshrrev_b32_e32 v7, 16, v8
	s_wait_alu 0xfffd
	v_cndmask_b32_e32 v8, 0x7c00, v11, vcc_lo
	v_cmp_eq_u32_e32 vcc_lo, 0x40f, v19
	s_delay_alu instid0(VALU_DEP_3) | instskip(SKIP_2) | instid1(VALU_DEP_2)
	v_and_or_b32 v4, 0x8000, v7, v4
	v_lshl_or_b32 v11, v2, 16, v3
	s_wait_alu 0xfffd
	v_dual_cndmask_b32 v7, v8, v1 :: v_dual_and_b32 v4, 0xffff, v4
	v_lshrrev_b32_e32 v8, 16, v12
	v_add_co_u32 v0, vcc_lo, v9, s2
	s_wait_alu 0xfffd
	v_add_co_ci_u32_e32 v1, vcc_lo, s3, v10, vcc_lo
	s_delay_alu instid0(VALU_DEP_3) | instskip(NEXT) | instid1(VALU_DEP_3)
	v_and_or_b32 v7, 0x8000, v8, v7
	v_add_co_u32 v2, vcc_lo, v0, s4
	s_wait_alu 0xfffd
	s_delay_alu instid0(VALU_DEP_3) | instskip(NEXT) | instid1(VALU_DEP_3)
	v_add_co_ci_u32_e32 v3, vcc_lo, s5, v1, vcc_lo
	v_lshl_or_b32 v4, v7, 16, v4
	s_delay_alu instid0(VALU_DEP_3) | instskip(SKIP_1) | instid1(VALU_DEP_3)
	v_add_co_u32 v7, vcc_lo, v2, s2
	s_wait_alu 0xfffd
	v_add_co_ci_u32_e32 v8, vcc_lo, s3, v3, vcc_lo
	global_store_b32 v[5:6], v17, off
	global_store_b32 v[9:10], v16, off
	;; [unrolled: 1-line block ×5, first 2 shown]
.LBB0_10:
	s_nop 0
	s_sendmsg sendmsg(MSG_DEALLOC_VGPRS)
	s_endpgm
	.section	.rodata,"a",@progbits
	.p2align	6, 0x0
	.amdhsa_kernel bluestein_single_fwd_len1078_dim1_half_op_CI_CI
		.amdhsa_group_segment_fixed_size 12936
		.amdhsa_private_segment_fixed_size 8
		.amdhsa_kernarg_size 104
		.amdhsa_user_sgpr_count 2
		.amdhsa_user_sgpr_dispatch_ptr 0
		.amdhsa_user_sgpr_queue_ptr 0
		.amdhsa_user_sgpr_kernarg_segment_ptr 1
		.amdhsa_user_sgpr_dispatch_id 0
		.amdhsa_user_sgpr_private_segment_size 0
		.amdhsa_wavefront_size32 1
		.amdhsa_uses_dynamic_stack 0
		.amdhsa_enable_private_segment 1
		.amdhsa_system_sgpr_workgroup_id_x 1
		.amdhsa_system_sgpr_workgroup_id_y 0
		.amdhsa_system_sgpr_workgroup_id_z 0
		.amdhsa_system_sgpr_workgroup_info 0
		.amdhsa_system_vgpr_workitem_id 0
		.amdhsa_next_free_vgpr 256
		.amdhsa_next_free_sgpr 20
		.amdhsa_reserve_vcc 1
		.amdhsa_float_round_mode_32 0
		.amdhsa_float_round_mode_16_64 0
		.amdhsa_float_denorm_mode_32 3
		.amdhsa_float_denorm_mode_16_64 3
		.amdhsa_fp16_overflow 0
		.amdhsa_workgroup_processor_mode 1
		.amdhsa_memory_ordered 1
		.amdhsa_forward_progress 0
		.amdhsa_round_robin_scheduling 0
		.amdhsa_exception_fp_ieee_invalid_op 0
		.amdhsa_exception_fp_denorm_src 0
		.amdhsa_exception_fp_ieee_div_zero 0
		.amdhsa_exception_fp_ieee_overflow 0
		.amdhsa_exception_fp_ieee_underflow 0
		.amdhsa_exception_fp_ieee_inexact 0
		.amdhsa_exception_int_div_zero 0
	.end_amdhsa_kernel
	.text
.Lfunc_end0:
	.size	bluestein_single_fwd_len1078_dim1_half_op_CI_CI, .Lfunc_end0-bluestein_single_fwd_len1078_dim1_half_op_CI_CI
                                        ; -- End function
	.section	.AMDGPU.csdata,"",@progbits
; Kernel info:
; codeLenInByte = 32156
; NumSgprs: 22
; NumVgprs: 256
; ScratchSize: 8
; MemoryBound: 0
; FloatMode: 240
; IeeeMode: 1
; LDSByteSize: 12936 bytes/workgroup (compile time only)
; SGPRBlocks: 2
; VGPRBlocks: 31
; NumSGPRsForWavesPerEU: 22
; NumVGPRsForWavesPerEU: 256
; Occupancy: 5
; WaveLimiterHint : 1
; COMPUTE_PGM_RSRC2:SCRATCH_EN: 1
; COMPUTE_PGM_RSRC2:USER_SGPR: 2
; COMPUTE_PGM_RSRC2:TRAP_HANDLER: 0
; COMPUTE_PGM_RSRC2:TGID_X_EN: 1
; COMPUTE_PGM_RSRC2:TGID_Y_EN: 0
; COMPUTE_PGM_RSRC2:TGID_Z_EN: 0
; COMPUTE_PGM_RSRC2:TIDIG_COMP_CNT: 0
	.text
	.p2alignl 7, 3214868480
	.fill 96, 4, 3214868480
	.type	__hip_cuid_76b3d87036ebda3b,@object ; @__hip_cuid_76b3d87036ebda3b
	.section	.bss,"aw",@nobits
	.globl	__hip_cuid_76b3d87036ebda3b
__hip_cuid_76b3d87036ebda3b:
	.byte	0                               ; 0x0
	.size	__hip_cuid_76b3d87036ebda3b, 1

	.ident	"AMD clang version 19.0.0git (https://github.com/RadeonOpenCompute/llvm-project roc-6.4.0 25133 c7fe45cf4b819c5991fe208aaa96edf142730f1d)"
	.section	".note.GNU-stack","",@progbits
	.addrsig
	.addrsig_sym __hip_cuid_76b3d87036ebda3b
	.amdgpu_metadata
---
amdhsa.kernels:
  - .args:
      - .actual_access:  read_only
        .address_space:  global
        .offset:         0
        .size:           8
        .value_kind:     global_buffer
      - .actual_access:  read_only
        .address_space:  global
        .offset:         8
        .size:           8
        .value_kind:     global_buffer
      - .actual_access:  read_only
        .address_space:  global
        .offset:         16
        .size:           8
        .value_kind:     global_buffer
      - .actual_access:  read_only
        .address_space:  global
        .offset:         24
        .size:           8
        .value_kind:     global_buffer
      - .actual_access:  read_only
        .address_space:  global
        .offset:         32
        .size:           8
        .value_kind:     global_buffer
      - .offset:         40
        .size:           8
        .value_kind:     by_value
      - .address_space:  global
        .offset:         48
        .size:           8
        .value_kind:     global_buffer
      - .address_space:  global
        .offset:         56
        .size:           8
        .value_kind:     global_buffer
      - .address_space:  global
        .offset:         64
        .size:           8
        .value_kind:     global_buffer
      - .address_space:  global
        .offset:         72
        .size:           8
        .value_kind:     global_buffer
      - .offset:         80
        .size:           4
        .value_kind:     by_value
      - .address_space:  global
        .offset:         88
        .size:           8
        .value_kind:     global_buffer
      - .address_space:  global
        .offset:         96
        .size:           8
        .value_kind:     global_buffer
    .group_segment_fixed_size: 12936
    .kernarg_segment_align: 8
    .kernarg_segment_size: 104
    .language:       OpenCL C
    .language_version:
      - 2
      - 0
    .max_flat_workgroup_size: 231
    .name:           bluestein_single_fwd_len1078_dim1_half_op_CI_CI
    .private_segment_fixed_size: 8
    .sgpr_count:     22
    .sgpr_spill_count: 0
    .symbol:         bluestein_single_fwd_len1078_dim1_half_op_CI_CI.kd
    .uniform_work_group_size: 1
    .uses_dynamic_stack: false
    .vgpr_count:     256
    .vgpr_spill_count: 1
    .wavefront_size: 32
    .workgroup_processor_mode: 1
amdhsa.target:   amdgcn-amd-amdhsa--gfx1201
amdhsa.version:
  - 1
  - 2
...

	.end_amdgpu_metadata
